;; amdgpu-corpus repo=ROCm/rocFFT kind=compiled arch=gfx950 opt=O3
	.text
	.amdgcn_target "amdgcn-amd-amdhsa--gfx950"
	.amdhsa_code_object_version 6
	.protected	bluestein_single_back_len3840_dim1_dp_op_CI_CI ; -- Begin function bluestein_single_back_len3840_dim1_dp_op_CI_CI
	.globl	bluestein_single_back_len3840_dim1_dp_op_CI_CI
	.p2align	8
	.type	bluestein_single_back_len3840_dim1_dp_op_CI_CI,@function
bluestein_single_back_len3840_dim1_dp_op_CI_CI: ; @bluestein_single_back_len3840_dim1_dp_op_CI_CI
; %bb.0:
	s_load_dwordx4 s[8:11], s[0:1], 0x28
	v_mov_b32_e32 v232, v0
	s_mov_b32 s3, 0
	s_waitcnt lgkmcnt(0)
	v_mov_b32_e32 v0, s8
	v_mov_b32_e32 v1, s9
	v_cmp_lt_u64_e32 vcc, s[2:3], v[0:1]
	s_and_saveexec_b64 s[4:5], vcc
	s_cbranch_execz .LBB0_2
; %bb.1:
	s_load_dwordx4 s[4:7], s[0:1], 0x0
	s_load_dwordx4 s[12:15], s[0:1], 0x18
	s_load_dwordx2 s[8:9], s[0:1], 0x38
	v_mov_b64_e32 v[0:1], s[2:3]
	v_mov_b32_e32 v2, s10
	v_mov_b32_e32 v3, s11
	s_waitcnt lgkmcnt(0)
	s_load_dwordx4 s[0:3], s[14:15], 0x0
	v_mov_b32_e32 v4, s8
	v_mov_b32_e32 v5, s9
	v_accvgpr_write_b32 a67, v5             ;  Reload Reuse
	v_accvgpr_write_b32 a69, v4             ;  Reload Reuse
	s_waitcnt lgkmcnt(0)
	v_mad_u64_u32 v[6:7], s[8:9], s2, v0, 0
	s_load_dwordx4 s[8:11], s[12:13], 0x0
	v_mov_b32_e32 v4, v7
	v_mad_u64_u32 v[4:5], s[2:3], s3, v0, v[4:5]
	v_mov_b32_e32 v7, v4
	v_accvgpr_write_b32 a71, v7             ;  Reload Reuse
	s_waitcnt lgkmcnt(0)
	v_mad_u64_u32 v[4:5], s[2:3], s10, v0, 0
	scratch_store_dword off, v6, off offset:92 ; 4-byte Folded Spill
	v_mov_b32_e32 v6, v5
	v_mad_u64_u32 v[0:1], s[2:3], s11, v0, v[6:7]
	v_mov_b32_e32 v5, v0
	v_mad_u64_u32 v[0:1], s[2:3], s8, v232, 0
	;; [unrolled: 2-line block ×3, first 2 shown]
	v_mov_b32_e32 v1, v6
	v_lshl_add_u64 v[2:3], v[4:5], 4, v[2:3]
	v_lshl_add_u64 v[8:9], v[0:1], 4, v[2:3]
	v_lshlrev_b32_e32 v240, 4, v232
	global_load_dwordx4 v[0:3], v[8:9], off
	global_load_dwordx4 v[10:13], v240, s[4:5]
	v_mov_b32_e32 v172, 0x1800
	v_mad_u64_u32 v[8:9], s[2:3], s8, v172, v[8:9]
	v_or_b32_e32 v126, 0x180, v232
	s_mul_i32 s2, s9, 0x1800
	v_add_u32_e32 v9, s2, v9
	v_or_b32_e32 v183, 0x300, v232
	v_or_b32_e32 v177, 0x480, v232
	;; [unrolled: 1-line block ×4, first 2 shown]
	s_add_u32 s14, s4, 0xf000
	s_mul_i32 s3, s9, 0xffff3000
	s_addc_u32 s15, s5, 0
	s_sub_i32 s3, s3, s8
	v_or_b32_e32 v184, 0x200, v232
	v_or_b32_e32 v124, 0x380, v232
	;; [unrolled: 1-line block ×14, first 2 shown]
	s_mov_b32 s13, 0xbfe2cf23
	s_mov_b32 s20, 0x9b97f4a8
	;; [unrolled: 1-line block ×6, first 2 shown]
	v_or_b32_e32 v146, 0x80, v232
	s_movk_i32 s24, 0x50
	v_mov_b32_e32 v233, 0
	s_mov_b32 s25, 0xbfebb67a
	s_movk_i32 s34, 0x78
	s_movk_i32 s36, 0xff88
	s_mov_b32 s37, -1
	v_cmp_gt_u32_e32 vcc, s34, v232
	v_mov_b32_e32 v147, v233
	v_mov_b32_e32 v241, v233
	;; [unrolled: 1-line block ×4, first 2 shown]
	s_mov_b32 s30, 0x8000
	s_mov_b32 s27, 0x9000
	;; [unrolled: 1-line block ×7, first 2 shown]
	s_waitcnt vmcnt(0)
	scratch_store_dwordx4 off, v[10:13], off offset:60 ; 16-byte Folded Spill
	v_mul_f64 v[4:5], v[2:3], v[12:13]
	v_fmac_f64_e32 v[4:5], v[0:1], v[10:11]
	v_mul_f64 v[0:1], v[0:1], v[12:13]
	v_fma_f64 v[6:7], v[2:3], v[10:11], -v[0:1]
	ds_write_b128 v240, v[4:7]
	v_lshlrev_b32_e32 v4, 4, v126
	global_load_dwordx4 v[0:3], v[8:9], off
	global_load_dwordx4 v[10:13], v4, s[4:5]
	v_mad_u64_u32 v[8:9], s[10:11], s8, v172, v[8:9]
	scratch_store_dword off, v4, off        ; 4-byte Folded Spill
	v_add_u32_e32 v9, s2, v9
	s_waitcnt vmcnt(1)
	v_mul_f64 v[4:5], v[2:3], v[12:13]
	v_fmac_f64_e32 v[4:5], v[0:1], v[10:11]
	v_mul_f64 v[0:1], v[0:1], v[12:13]
	v_fma_f64 v[6:7], v[2:3], v[10:11], -v[0:1]
	ds_write_b128 v240, v[4:7] offset:6144
	v_lshlrev_b32_e32 v4, 4, v183
	scratch_store_dwordx4 off, v[10:13], off offset:100 ; 16-byte Folded Spill
	global_load_dwordx4 v[0:3], v[8:9], off
	v_mad_u64_u32 v[8:9], s[10:11], s8, v172, v[8:9]
	global_load_dwordx4 v[10:13], v4, s[4:5]
	v_add_u32_e32 v9, s2, v9
	scratch_store_dword off, v4, off offset:8 ; 4-byte Folded Spill
	s_waitcnt vmcnt(1)
	v_mul_f64 v[4:5], v[2:3], v[12:13]
	v_fmac_f64_e32 v[4:5], v[0:1], v[10:11]
	v_mul_f64 v[0:1], v[0:1], v[12:13]
	v_fma_f64 v[6:7], v[2:3], v[10:11], -v[0:1]
	ds_write_b128 v240, v[4:7] offset:12288
	v_lshlrev_b32_e32 v4, 4, v177
	scratch_store_dwordx4 off, v[10:13], off offset:152 ; 16-byte Folded Spill
	global_load_dwordx4 v[0:3], v[8:9], off
	v_mad_u64_u32 v[8:9], s[10:11], s8, v172, v[8:9]
	global_load_dwordx4 v[10:13], v4, s[4:5]
	v_add_u32_e32 v9, s2, v9
	scratch_store_dword off, v4, off offset:16 ; 4-byte Folded Spill
	;; [unrolled: 13-line block ×3, first 2 shown]
	s_waitcnt vmcnt(1)
	v_mul_f64 v[4:5], v[2:3], v[12:13]
	v_fmac_f64_e32 v[4:5], v[0:1], v[10:11]
	v_mul_f64 v[0:1], v[0:1], v[12:13]
	v_fma_f64 v[6:7], v[2:3], v[10:11], -v[0:1]
	ds_write_b128 v240, v[4:7] offset:24576
	v_or_b32_e32 v4, 0x7800, v240
	scratch_store_dwordx4 off, v[10:13], off offset:260 ; 16-byte Folded Spill
	global_load_dwordx4 v[0:3], v[8:9], off
	v_mad_u64_u32 v[8:9], s[10:11], s8, v172, v[8:9]
	global_load_dwordx4 v[10:13], v4, s[4:5]
	v_add_u32_e32 v9, s2, v9
	s_waitcnt vmcnt(0)
	v_mul_f64 v[4:5], v[2:3], v[12:13]
	v_fmac_f64_e32 v[4:5], v[0:1], v[10:11]
	v_mul_f64 v[0:1], v[0:1], v[12:13]
	v_fma_f64 v[6:7], v[2:3], v[10:11], -v[0:1]
	ds_write_b128 v240, v[4:7] offset:30720
	v_or_b32_e32 v4, 0x9000, v240
	scratch_store_dwordx4 off, v[10:13], off offset:316 ; 16-byte Folded Spill
	global_load_dwordx4 v[0:3], v[8:9], off
	v_mad_u64_u32 v[8:9], s[10:11], s8, v172, v[8:9]
	global_load_dwordx4 v[10:13], v4, s[4:5]
	v_add_u32_e32 v9, s2, v9
	s_waitcnt vmcnt(0)
	v_mul_f64 v[4:5], v[2:3], v[12:13]
	v_fmac_f64_e32 v[4:5], v[0:1], v[10:11]
	v_mul_f64 v[0:1], v[0:1], v[12:13]
	v_fma_f64 v[6:7], v[2:3], v[10:11], -v[0:1]
	ds_write_b128 v240, v[4:7] offset:36864
	v_or_b32_e32 v4, 0xa800, v240
	scratch_store_dwordx4 off, v[10:13], off offset:388 ; 16-byte Folded Spill
	global_load_dwordx4 v[0:3], v[8:9], off
	v_mad_u64_u32 v[8:9], s[10:11], s8, v172, v[8:9]
	global_load_dwordx4 v[10:13], v4, s[4:5]
	v_add_u32_e32 v9, s2, v9
	s_waitcnt vmcnt(0)
	v_mul_f64 v[4:5], v[2:3], v[12:13]
	v_fmac_f64_e32 v[4:5], v[0:1], v[10:11]
	v_mul_f64 v[0:1], v[0:1], v[12:13]
	v_fma_f64 v[6:7], v[2:3], v[10:11], -v[0:1]
	ds_write_b128 v240, v[4:7] offset:43008
	v_or_b32_e32 v4, 0xc000, v240
	scratch_store_dwordx4 off, v[10:13], off offset:420 ; 16-byte Folded Spill
	global_load_dwordx4 v[0:3], v[8:9], off
	v_mad_u64_u32 v[8:9], s[10:11], s8, v172, v[8:9]
	global_load_dwordx4 v[10:13], v4, s[4:5]
	v_add_u32_e32 v9, s2, v9
	s_waitcnt vmcnt(0)
	v_mul_f64 v[4:5], v[2:3], v[12:13]
	v_fmac_f64_e32 v[4:5], v[0:1], v[10:11]
	v_mul_f64 v[0:1], v[0:1], v[12:13]
	scratch_store_dwordx4 off, v[10:13], off offset:436 ; 16-byte Folded Spill
	v_fma_f64 v[6:7], v[2:3], v[10:11], -v[0:1]
	global_load_dwordx4 v[0:3], v[8:9], off
	global_load_dwordx4 v[10:13], v255, s[4:5]
	ds_write_b128 v240, v[4:7] offset:49152
	s_waitcnt vmcnt(0)
	v_mul_f64 v[4:5], v[2:3], v[12:13]
	v_fmac_f64_e32 v[4:5], v[0:1], v[10:11]
	v_mul_f64 v[0:1], v[0:1], v[12:13]
	v_fma_f64 v[6:7], v[2:3], v[10:11], -v[0:1]
	v_mov_b32_e32 v0, 0xffff3000
	v_mad_u64_u32 v[8:9], s[10:11], s8, v0, v[8:9]
	scratch_store_dwordx4 off, v[10:13], off offset:496 ; 16-byte Folded Spill
	ds_write_b128 v240, v[4:7] offset:55296
	v_add_u32_e32 v9, s3, v9
	global_load_dwordx4 v[0:3], v[8:9], off
	global_load_dwordx4 v[12:15], v240, s[4:5] offset:2048
	v_mad_u64_u32 v[8:9], s[10:11], s8, v172, v[8:9]
	v_add_u32_e32 v9, s2, v9
	v_mov_b32_e32 v10, 0xffff3000
	s_waitcnt vmcnt(0)
	v_mul_f64 v[4:5], v[2:3], v[14:15]
	v_fmac_f64_e32 v[4:5], v[0:1], v[12:13]
	v_mul_f64 v[0:1], v[0:1], v[14:15]
	v_fma_f64 v[6:7], v[2:3], v[12:13], -v[0:1]
	ds_write_b128 v240, v[4:7] offset:2048
	v_lshlrev_b32_e32 v4, 4, v184
	scratch_store_dwordx4 off, v[12:15], off offset:76 ; 16-byte Folded Spill
	global_load_dwordx4 v[0:3], v[8:9], off
	v_mad_u64_u32 v[8:9], s[10:11], s8, v172, v[8:9]
	global_load_dwordx4 v[12:15], v4, s[4:5]
	v_add_u32_e32 v9, s2, v9
	scratch_store_dword off, v4, off offset:4 ; 4-byte Folded Spill
	s_waitcnt vmcnt(1)
	v_mul_f64 v[4:5], v[2:3], v[14:15]
	v_fmac_f64_e32 v[4:5], v[0:1], v[12:13]
	v_mul_f64 v[0:1], v[0:1], v[14:15]
	v_fma_f64 v[6:7], v[2:3], v[12:13], -v[0:1]
	ds_write_b128 v240, v[4:7] offset:8192
	v_lshlrev_b32_e32 v4, 4, v124
	scratch_store_dwordx4 off, v[12:15], off offset:116 ; 16-byte Folded Spill
	global_load_dwordx4 v[0:3], v[8:9], off
	v_mad_u64_u32 v[8:9], s[10:11], s8, v172, v[8:9]
	global_load_dwordx4 v[12:15], v4, s[4:5]
	v_add_u32_e32 v9, s2, v9
	scratch_store_dword off, v4, off offset:12 ; 4-byte Folded Spill
	;; [unrolled: 13-line block ×4, first 2 shown]
	s_waitcnt vmcnt(1)
	v_mul_f64 v[4:5], v[2:3], v[14:15]
	v_fmac_f64_e32 v[4:5], v[0:1], v[12:13]
	v_mul_f64 v[0:1], v[0:1], v[14:15]
	scratch_store_dwordx4 off, v[12:15], off offset:468 ; 16-byte Folded Spill
	v_fma_f64 v[6:7], v[2:3], v[12:13], -v[0:1]
	global_load_dwordx4 v[0:3], v[8:9], off
	global_load_dwordx4 v[12:15], v254, s[4:5]
	ds_write_b128 v240, v[4:7] offset:26624
	v_mad_u64_u32 v[8:9], s[10:11], s8, v172, v[8:9]
	v_add_u32_e32 v9, s2, v9
	s_waitcnt vmcnt(0)
	v_mul_f64 v[4:5], v[2:3], v[14:15]
	v_fmac_f64_e32 v[4:5], v[0:1], v[12:13]
	v_mul_f64 v[0:1], v[0:1], v[14:15]
	scratch_store_dwordx4 off, v[12:15], off offset:512 ; 16-byte Folded Spill
	v_fma_f64 v[6:7], v[2:3], v[12:13], -v[0:1]
	global_load_dwordx4 v[0:3], v[8:9], off
	global_load_dwordx4 v[12:15], v239, s[4:5]
	ds_write_b128 v240, v[4:7] offset:32768
	v_mad_u64_u32 v[8:9], s[10:11], s8, v172, v[8:9]
	v_add_u32_e32 v9, s2, v9
	s_waitcnt vmcnt(0)
	v_mul_f64 v[4:5], v[2:3], v[14:15]
	v_fmac_f64_e32 v[4:5], v[0:1], v[12:13]
	v_mul_f64 v[0:1], v[0:1], v[14:15]
	scratch_store_dwordx4 off, v[12:15], off offset:528 ; 16-byte Folded Spill
	v_fma_f64 v[6:7], v[2:3], v[12:13], -v[0:1]
	global_load_dwordx4 v[0:3], v[8:9], off
	global_load_dwordx4 v[12:15], v238, s[4:5]
	ds_write_b128 v240, v[4:7] offset:38912
	v_mad_u64_u32 v[8:9], s[10:11], s8, v172, v[8:9]
	v_add_u32_e32 v9, s2, v9
	s_waitcnt vmcnt(0)
	v_mul_f64 v[4:5], v[2:3], v[14:15]
	v_fmac_f64_e32 v[4:5], v[0:1], v[12:13]
	v_mul_f64 v[0:1], v[0:1], v[14:15]
	scratch_store_dwordx4 off, v[12:15], off offset:544 ; 16-byte Folded Spill
	v_fma_f64 v[6:7], v[2:3], v[12:13], -v[0:1]
	global_load_dwordx4 v[0:3], v[8:9], off
	global_load_dwordx4 v[12:15], v237, s[4:5]
	ds_write_b128 v240, v[4:7] offset:45056
	v_mad_u64_u32 v[8:9], s[10:11], s8, v172, v[8:9]
	v_add_u32_e32 v9, s2, v9
	s_waitcnt vmcnt(0)
	v_mul_f64 v[4:5], v[2:3], v[14:15]
	v_fmac_f64_e32 v[4:5], v[0:1], v[12:13]
	v_mul_f64 v[0:1], v[0:1], v[14:15]
	scratch_store_dwordx4 off, v[12:15], off offset:564 ; 16-byte Folded Spill
	v_fma_f64 v[6:7], v[2:3], v[12:13], -v[0:1]
	global_load_dwordx4 v[0:3], v[8:9], off
	global_load_dwordx4 v[12:15], v236, s[4:5]
	ds_write_b128 v240, v[4:7] offset:51200
	v_mad_u64_u32 v[8:9], s[10:11], s8, v10, v[8:9]
	v_add_u32_e32 v9, s3, v9
	s_waitcnt vmcnt(0)
	v_mul_f64 v[4:5], v[2:3], v[14:15]
	v_fmac_f64_e32 v[4:5], v[0:1], v[12:13]
	v_mul_f64 v[0:1], v[0:1], v[14:15]
	v_fma_f64 v[6:7], v[2:3], v[12:13], -v[0:1]
	ds_write_b128 v240, v[4:7] offset:57344
	v_lshlrev_b32_e32 v4, 4, v186
	scratch_store_dwordx4 off, v[12:15], off offset:580 ; 16-byte Folded Spill
	global_load_dwordx4 v[0:3], v[8:9], off
	v_mad_u64_u32 v[8:9], s[10:11], s8, v172, v[8:9]
	global_load_dwordx4 v[10:13], v4, s[4:5]
	v_add_u32_e32 v9, s2, v9
	scratch_store_dword off, v4, off offset:36 ; 4-byte Folded Spill
	s_waitcnt vmcnt(1)
	v_mul_f64 v[4:5], v[2:3], v[12:13]
	v_fmac_f64_e32 v[4:5], v[0:1], v[10:11]
	v_mul_f64 v[0:1], v[0:1], v[12:13]
	v_fma_f64 v[6:7], v[2:3], v[10:11], -v[0:1]
	ds_write_b128 v240, v[4:7] offset:4096
	v_lshlrev_b32_e32 v4, 4, v185
	scratch_store_dwordx4 off, v[10:13], off offset:352 ; 16-byte Folded Spill
	global_load_dwordx4 v[0:3], v[8:9], off
	v_mad_u64_u32 v[8:9], s[10:11], s8, v172, v[8:9]
	global_load_dwordx4 v[10:13], v4, s[4:5]
	v_add_u32_e32 v9, s2, v9
	scratch_store_dword off, v4, off offset:44 ; 4-byte Folded Spill
	;; [unrolled: 13-line block ×5, first 2 shown]
	s_waitcnt vmcnt(1)
	v_mul_f64 v[4:5], v[2:3], v[12:13]
	v_fmac_f64_e32 v[4:5], v[0:1], v[10:11]
	v_mul_f64 v[0:1], v[0:1], v[12:13]
	v_fma_f64 v[6:7], v[2:3], v[10:11], -v[0:1]
	ds_write_b128 v240, v[4:7] offset:28672
	v_or_b32_e32 v4, 0x8800, v240
	scratch_store_dwordx4 off, v[10:13], off offset:244 ; 16-byte Folded Spill
	global_load_dwordx4 v[0:3], v[8:9], off
	v_mad_u64_u32 v[8:9], s[10:11], s8, v172, v[8:9]
	global_load_dwordx4 v[10:13], v4, s[4:5]
	v_add_u32_e32 v9, s2, v9
	s_waitcnt vmcnt(0)
	v_mul_f64 v[4:5], v[2:3], v[12:13]
	v_fmac_f64_e32 v[4:5], v[0:1], v[10:11]
	v_mul_f64 v[0:1], v[0:1], v[12:13]
	v_fma_f64 v[6:7], v[2:3], v[10:11], -v[0:1]
	ds_write_b128 v240, v[4:7] offset:34816
	v_or_b32_e32 v4, 0xa000, v240
	scratch_store_dwordx4 off, v[10:13], off offset:336 ; 16-byte Folded Spill
	global_load_dwordx4 v[0:3], v[8:9], off
	v_mad_u64_u32 v[8:9], s[10:11], s8, v172, v[8:9]
	global_load_dwordx4 v[10:13], v4, s[4:5]
	v_add_u32_e32 v9, s2, v9
	;; [unrolled: 12-line block ×3, first 2 shown]
	s_mov_b32 s11, 0xbfee6f0e
	s_waitcnt vmcnt(0)
	v_mul_f64 v[4:5], v[2:3], v[12:13]
	v_fmac_f64_e32 v[4:5], v[0:1], v[10:11]
	v_mul_f64 v[0:1], v[0:1], v[12:13]
	v_fma_f64 v[6:7], v[2:3], v[10:11], -v[0:1]
	ds_write_b128 v240, v[4:7] offset:47104
	v_or_b32_e32 v4, 0xd000, v240
	scratch_store_dwordx4 off, v[10:13], off offset:276 ; 16-byte Folded Spill
	global_load_dwordx4 v[0:3], v[8:9], off
	s_nop 0
	global_load_dwordx4 v[10:13], v4, s[4:5]
	s_waitcnt vmcnt(0)
	v_mul_f64 v[4:5], v[2:3], v[12:13]
	v_fmac_f64_e32 v[4:5], v[0:1], v[10:11]
	v_mul_f64 v[0:1], v[0:1], v[12:13]
	v_fma_f64 v[6:7], v[2:3], v[10:11], -v[0:1]
	v_mad_u64_u32 v[0:1], s[8:9], s8, v172, v[8:9]
	ds_write_b128 v240, v[4:7] offset:53248
	v_add_u32_e32 v1, s2, v1
	v_or_b32_e32 v4, 0xe800, v240
	scratch_store_dwordx4 off, v[10:13], off offset:192 ; 16-byte Folded Spill
	global_load_dwordx4 v[0:3], v[0:1], off
	s_mov_b32 s2, 0x4755a5e
	global_load_dwordx4 v[8:11], v4, s[4:5]
	s_mov_b32 s4, 0x134454ff
	s_mov_b32 s5, 0x3fee6f0e
	;; [unrolled: 1-line block ×8, first 2 shown]
	s_waitcnt vmcnt(0)
	v_mul_f64 v[4:5], v[2:3], v[10:11]
	v_fmac_f64_e32 v[4:5], v[0:1], v[8:9]
	v_mul_f64 v[0:1], v[0:1], v[10:11]
	v_fma_f64 v[6:7], v[2:3], v[8:9], -v[0:1]
	scratch_store_dwordx4 off, v[8:11], off offset:132 ; 16-byte Folded Spill
	ds_write_b128 v240, v[4:7] offset:59392
	s_waitcnt lgkmcnt(0)
	s_barrier
	ds_read_b128 v[42:45], v240
	ds_read_b128 v[30:33], v240 offset:6144
	ds_read_b128 v[20:23], v240 offset:12288
	ds_read_b128 v[4:7], v240 offset:18432
	ds_read_b128 v[34:37], v240 offset:24576
	ds_read_b128 v[8:11], v240 offset:30720
	ds_read_b128 v[38:41], v240 offset:36864
	ds_read_b128 v[12:15], v240 offset:43008
	ds_read_b128 v[46:49], v240 offset:49152
	ds_read_b128 v[16:19], v240 offset:55296
	ds_read_b128 v[82:85], v240 offset:2048
	ds_read_b128 v[104:107], v240 offset:8192
	ds_read_b128 v[108:111], v240 offset:14336
	ds_read_b128 v[86:89], v240 offset:20480
	ds_read_b128 v[112:115], v240 offset:26624
	ds_read_b128 v[90:93], v240 offset:32768
	ds_read_b128 v[116:119], v240 offset:38912
	ds_read_b128 v[94:97], v240 offset:45056
	ds_read_b128 v[120:123], v240 offset:51200
	ds_read_b128 v[98:101], v240 offset:57344
	ds_read_b128 v[0:3], v240 offset:4096
	ds_read_b128 v[26:29], v240 offset:10240
	ds_read_b128 v[66:69], v240 offset:16384
	ds_read_b128 v[50:53], v240 offset:22528
	ds_read_b128 v[70:73], v240 offset:28672
	ds_read_b128 v[54:57], v240 offset:34816
	ds_read_b128 v[74:77], v240 offset:40960
	ds_read_b128 v[58:61], v240 offset:47104
	ds_read_b128 v[78:81], v240 offset:53248
	ds_read_b128 v[62:65], v240 offset:59392
	s_waitcnt lgkmcnt(14)
	v_add_f64 v[24:25], v[42:43], v[20:21]
	v_add_f64 v[24:25], v[24:25], v[34:35]
	;; [unrolled: 1-line block ×5, first 2 shown]
	v_fma_f64 v[102:103], -0.5, v[24:25], v[42:43]
	v_add_f64 v[24:25], v[22:23], -v[48:49]
	v_fma_f64 v[132:133], s[4:5], v[24:25], v[102:103]
	v_add_f64 v[134:135], v[36:37], -v[40:41]
	v_add_f64 v[136:137], v[20:21], -v[34:35]
	;; [unrolled: 1-line block ×3, first 2 shown]
	v_fmac_f64_e32 v[102:103], s[10:11], v[24:25]
	v_fmac_f64_e32 v[132:133], s[2:3], v[134:135]
	v_add_f64 v[136:137], v[136:137], v[138:139]
	v_fmac_f64_e32 v[102:103], s[12:13], v[134:135]
	v_fmac_f64_e32 v[132:133], s[8:9], v[136:137]
	;; [unrolled: 1-line block ×3, first 2 shown]
	v_add_f64 v[136:137], v[20:21], v[46:47]
	v_fmac_f64_e32 v[42:43], -0.5, v[136:137]
	v_fma_f64 v[140:141], s[10:11], v[134:135], v[42:43]
	v_fmac_f64_e32 v[42:43], s[4:5], v[134:135]
	v_fmac_f64_e32 v[140:141], s[2:3], v[24:25]
	;; [unrolled: 1-line block ×3, first 2 shown]
	v_add_f64 v[24:25], v[44:45], v[22:23]
	v_add_f64 v[136:137], v[34:35], -v[20:21]
	v_add_f64 v[138:139], v[38:39], -v[46:47]
	v_add_f64 v[24:25], v[24:25], v[36:37]
	v_add_f64 v[136:137], v[136:137], v[138:139]
	;; [unrolled: 1-line block ×3, first 2 shown]
	v_fmac_f64_e32 v[140:141], s[8:9], v[136:137]
	v_fmac_f64_e32 v[42:43], s[8:9], v[136:137]
	v_add_f64 v[136:137], v[24:25], v[48:49]
	v_add_f64 v[24:25], v[36:37], v[40:41]
	v_fma_f64 v[134:135], -0.5, v[24:25], v[44:45]
	v_add_f64 v[20:21], v[20:21], -v[46:47]
	v_fma_f64 v[138:139], s[10:11], v[20:21], v[134:135]
	v_add_f64 v[24:25], v[34:35], -v[38:39]
	v_add_f64 v[34:35], v[22:23], -v[36:37]
	;; [unrolled: 1-line block ×3, first 2 shown]
	v_fmac_f64_e32 v[134:135], s[4:5], v[20:21]
	v_fmac_f64_e32 v[138:139], s[12:13], v[24:25]
	v_add_f64 v[34:35], v[34:35], v[38:39]
	v_fmac_f64_e32 v[134:135], s[2:3], v[24:25]
	v_fmac_f64_e32 v[138:139], s[8:9], v[34:35]
	v_fmac_f64_e32 v[134:135], s[8:9], v[34:35]
	v_add_f64 v[34:35], v[22:23], v[48:49]
	v_fmac_f64_e32 v[44:45], -0.5, v[34:35]
	v_fma_f64 v[142:143], s[4:5], v[24:25], v[44:45]
	v_fmac_f64_e32 v[44:45], s[10:11], v[24:25]
	v_fmac_f64_e32 v[142:143], s[12:13], v[20:21]
	;; [unrolled: 1-line block ×3, first 2 shown]
	v_add_f64 v[20:21], v[30:31], v[4:5]
	v_add_f64 v[20:21], v[20:21], v[8:9]
	v_add_f64 v[22:23], v[36:37], -v[22:23]
	v_add_f64 v[34:35], v[40:41], -v[48:49]
	v_add_f64 v[20:21], v[20:21], v[12:13]
	v_add_f64 v[22:23], v[22:23], v[34:35]
	;; [unrolled: 1-line block ×4, first 2 shown]
	v_fmac_f64_e32 v[142:143], s[8:9], v[22:23]
	v_fmac_f64_e32 v[44:45], s[8:9], v[22:23]
	v_fma_f64 v[20:21], -0.5, v[20:21], v[30:31]
	v_add_f64 v[22:23], v[6:7], -v[18:19]
	v_fma_f64 v[24:25], s[4:5], v[22:23], v[20:21]
	v_add_f64 v[36:37], v[10:11], -v[14:15]
	v_add_f64 v[38:39], v[4:5], -v[8:9]
	;; [unrolled: 1-line block ×3, first 2 shown]
	v_fmac_f64_e32 v[20:21], s[10:11], v[22:23]
	v_fmac_f64_e32 v[24:25], s[2:3], v[36:37]
	v_add_f64 v[38:39], v[38:39], v[40:41]
	v_fmac_f64_e32 v[20:21], s[12:13], v[36:37]
	v_fmac_f64_e32 v[24:25], s[8:9], v[38:39]
	;; [unrolled: 1-line block ×3, first 2 shown]
	v_add_f64 v[38:39], v[4:5], v[16:17]
	v_fmac_f64_e32 v[30:31], -0.5, v[38:39]
	v_fma_f64 v[38:39], s[10:11], v[36:37], v[30:31]
	v_fmac_f64_e32 v[30:31], s[4:5], v[36:37]
	v_fmac_f64_e32 v[38:39], s[2:3], v[22:23]
	;; [unrolled: 1-line block ×3, first 2 shown]
	v_add_f64 v[22:23], v[32:33], v[6:7]
	v_add_f64 v[22:23], v[22:23], v[10:11]
	v_add_f64 v[40:41], v[8:9], -v[4:5]
	v_add_f64 v[46:47], v[12:13], -v[16:17]
	v_add_f64 v[22:23], v[22:23], v[14:15]
	v_add_f64 v[40:41], v[40:41], v[46:47]
	;; [unrolled: 1-line block ×4, first 2 shown]
	v_fmac_f64_e32 v[38:39], s[8:9], v[40:41]
	v_fmac_f64_e32 v[30:31], s[8:9], v[40:41]
	v_fma_f64 v[40:41], -0.5, v[22:23], v[32:33]
	v_add_f64 v[4:5], v[4:5], -v[16:17]
	v_fma_f64 v[46:47], s[10:11], v[4:5], v[40:41]
	v_add_f64 v[8:9], v[8:9], -v[12:13]
	v_add_f64 v[12:13], v[6:7], -v[10:11]
	;; [unrolled: 1-line block ×3, first 2 shown]
	v_fmac_f64_e32 v[40:41], s[4:5], v[4:5]
	v_fmac_f64_e32 v[46:47], s[12:13], v[8:9]
	v_add_f64 v[12:13], v[12:13], v[16:17]
	v_fmac_f64_e32 v[40:41], s[2:3], v[8:9]
	v_fmac_f64_e32 v[46:47], s[8:9], v[12:13]
	;; [unrolled: 1-line block ×3, first 2 shown]
	v_add_f64 v[12:13], v[6:7], v[18:19]
	v_fmac_f64_e32 v[32:33], -0.5, v[12:13]
	v_fma_f64 v[48:49], s[4:5], v[8:9], v[32:33]
	v_add_f64 v[6:7], v[10:11], -v[6:7]
	v_add_f64 v[10:11], v[14:15], -v[18:19]
	v_fmac_f64_e32 v[48:49], s[12:13], v[4:5]
	v_add_f64 v[6:7], v[6:7], v[10:11]
	v_fmac_f64_e32 v[32:33], s[10:11], v[8:9]
	v_fmac_f64_e32 v[48:49], s[8:9], v[6:7]
	;; [unrolled: 1-line block ×3, first 2 shown]
	v_mul_f64 v[4:5], v[24:25], s[20:21]
	v_fmac_f64_e32 v[4:5], s[2:3], v[46:47]
	v_mul_f64 v[144:145], v[48:49], s[4:5]
	v_add_f64 v[14:15], v[130:131], v[34:35]
	v_add_f64 v[10:11], v[132:133], v[4:5]
	v_fmac_f64_e32 v[144:145], s[8:9], v[38:39]
	v_mul_f64 v[154:155], v[38:39], s[10:11]
	v_add_f64 v[38:39], v[130:131], -v[34:35]
	v_add_f64 v[34:35], v[132:133], -v[4:5]
	v_add_f64 v[4:5], v[82:83], v[108:109]
	v_add_f64 v[4:5], v[4:5], v[112:113]
	v_fmac_f64_e32 v[32:33], s[8:9], v[6:7]
	v_mul_f64 v[148:149], v[30:31], s[18:19]
	v_mul_f64 v[150:151], v[20:21], s[16:17]
	s_waitcnt lgkmcnt(13)
	v_add_f64 v[4:5], v[4:5], v[116:117]
	v_fmac_f64_e32 v[148:149], s[4:5], v[32:33]
	v_fmac_f64_e32 v[150:151], s[2:3], v[40:41]
	v_mul_f64 v[152:153], v[24:25], s[12:13]
	v_fmac_f64_e32 v[154:155], s[8:9], v[48:49]
	v_mul_f64 v[48:49], v[32:33], s[18:19]
	v_mul_f64 v[156:157], v[40:41], s[16:17]
	s_waitcnt lgkmcnt(11)
	v_add_f64 v[132:133], v[4:5], v[120:121]
	v_add_f64 v[4:5], v[112:113], v[116:117]
	;; [unrolled: 1-line block ×4, first 2 shown]
	v_fmac_f64_e32 v[152:153], s[20:21], v[46:47]
	v_fmac_f64_e32 v[48:49], s[10:11], v[30:31]
	;; [unrolled: 1-line block ×3, first 2 shown]
	v_add_f64 v[46:47], v[42:43], -v[148:149]
	v_add_f64 v[42:43], v[102:103], -v[150:151]
	v_fma_f64 v[4:5], -0.5, v[4:5], v[82:83]
	v_add_f64 v[102:103], v[110:111], -v[122:123]
	v_add_f64 v[16:17], v[136:137], v[36:37]
	v_add_f64 v[12:13], v[138:139], v[152:153]
	;; [unrolled: 1-line block ×4, first 2 shown]
	v_add_f64 v[40:41], v[136:137], -v[36:37]
	v_add_f64 v[36:37], v[138:139], -v[152:153]
	;; [unrolled: 1-line block ×4, first 2 shown]
	v_fma_f64 v[136:137], s[4:5], v[102:103], v[4:5]
	v_add_f64 v[130:131], v[114:115], -v[118:119]
	v_add_f64 v[134:135], v[108:109], -v[112:113]
	;; [unrolled: 1-line block ×3, first 2 shown]
	v_fmac_f64_e32 v[4:5], s[10:11], v[102:103]
	v_fmac_f64_e32 v[136:137], s[2:3], v[130:131]
	v_add_f64 v[134:135], v[134:135], v[138:139]
	v_fmac_f64_e32 v[4:5], s[12:13], v[130:131]
	v_fmac_f64_e32 v[136:137], s[8:9], v[134:135]
	;; [unrolled: 1-line block ×3, first 2 shown]
	v_add_f64 v[134:135], v[108:109], v[120:121]
	v_fmac_f64_e32 v[82:83], -0.5, v[134:135]
	v_fma_f64 v[138:139], s[10:11], v[130:131], v[82:83]
	v_fmac_f64_e32 v[82:83], s[4:5], v[130:131]
	v_fmac_f64_e32 v[138:139], s[2:3], v[102:103]
	;; [unrolled: 1-line block ×3, first 2 shown]
	v_add_f64 v[102:103], v[84:85], v[110:111]
	v_add_f64 v[6:7], v[140:141], v[144:145]
	v_add_f64 v[30:31], v[140:141], -v[144:145]
	v_add_f64 v[134:135], v[112:113], -v[108:109]
	;; [unrolled: 1-line block ×3, first 2 shown]
	v_add_f64 v[102:103], v[102:103], v[114:115]
	v_add_f64 v[134:135], v[134:135], v[140:141]
	;; [unrolled: 1-line block ×3, first 2 shown]
	v_fmac_f64_e32 v[138:139], s[8:9], v[134:135]
	v_fmac_f64_e32 v[82:83], s[8:9], v[134:135]
	v_add_f64 v[134:135], v[102:103], v[122:123]
	v_add_f64 v[102:103], v[114:115], v[118:119]
	v_fma_f64 v[130:131], -0.5, v[102:103], v[84:85]
	v_add_f64 v[102:103], v[108:109], -v[120:121]
	v_fma_f64 v[108:109], s[10:11], v[102:103], v[130:131]
	v_add_f64 v[112:113], v[112:113], -v[116:117]
	v_add_f64 v[116:117], v[110:111], -v[114:115]
	;; [unrolled: 1-line block ×3, first 2 shown]
	v_fmac_f64_e32 v[130:131], s[4:5], v[102:103]
	v_fmac_f64_e32 v[108:109], s[12:13], v[112:113]
	v_add_f64 v[116:117], v[116:117], v[120:121]
	v_fmac_f64_e32 v[130:131], s[2:3], v[112:113]
	v_fmac_f64_e32 v[108:109], s[8:9], v[116:117]
	;; [unrolled: 1-line block ×3, first 2 shown]
	v_add_f64 v[116:117], v[110:111], v[122:123]
	v_fmac_f64_e32 v[84:85], -0.5, v[116:117]
	v_fma_f64 v[120:121], s[4:5], v[112:113], v[84:85]
	v_fmac_f64_e32 v[84:85], s[10:11], v[112:113]
	v_fmac_f64_e32 v[120:121], s[12:13], v[102:103]
	;; [unrolled: 1-line block ×3, first 2 shown]
	v_add_f64 v[102:103], v[104:105], v[86:87]
	v_add_f64 v[110:111], v[114:115], -v[110:111]
	v_add_f64 v[114:115], v[118:119], -v[122:123]
	v_add_f64 v[102:103], v[102:103], v[90:91]
	v_add_f64 v[110:111], v[110:111], v[114:115]
	;; [unrolled: 1-line block ×3, first 2 shown]
	v_fmac_f64_e32 v[120:121], s[8:9], v[110:111]
	v_fmac_f64_e32 v[84:85], s[8:9], v[110:111]
	s_waitcnt lgkmcnt(10)
	v_add_f64 v[110:111], v[102:103], v[98:99]
	v_add_f64 v[102:103], v[90:91], v[94:95]
	v_fma_f64 v[112:113], -0.5, v[102:103], v[104:105]
	v_add_f64 v[102:103], v[88:89], -v[100:101]
	v_fma_f64 v[114:115], s[4:5], v[102:103], v[112:113]
	v_add_f64 v[116:117], v[92:93], -v[96:97]
	v_add_f64 v[118:119], v[86:87], -v[90:91]
	;; [unrolled: 1-line block ×3, first 2 shown]
	v_fmac_f64_e32 v[112:113], s[10:11], v[102:103]
	v_fmac_f64_e32 v[114:115], s[2:3], v[116:117]
	v_add_f64 v[118:119], v[118:119], v[122:123]
	v_fmac_f64_e32 v[112:113], s[12:13], v[116:117]
	v_fmac_f64_e32 v[114:115], s[8:9], v[118:119]
	v_fmac_f64_e32 v[112:113], s[8:9], v[118:119]
	v_add_f64 v[118:119], v[86:87], v[98:99]
	v_fmac_f64_e32 v[104:105], -0.5, v[118:119]
	v_fma_f64 v[118:119], s[10:11], v[116:117], v[104:105]
	v_fmac_f64_e32 v[104:105], s[4:5], v[116:117]
	v_fmac_f64_e32 v[118:119], s[2:3], v[102:103]
	v_fmac_f64_e32 v[104:105], s[12:13], v[102:103]
	v_add_f64 v[102:103], v[106:107], v[88:89]
	v_add_f64 v[102:103], v[102:103], v[92:93]
	v_add_f64 v[122:123], v[90:91], -v[86:87]
	v_add_f64 v[140:141], v[94:95], -v[98:99]
	v_add_f64 v[102:103], v[102:103], v[96:97]
	v_add_f64 v[122:123], v[122:123], v[140:141]
	;; [unrolled: 1-line block ×4, first 2 shown]
	v_fmac_f64_e32 v[118:119], s[8:9], v[122:123]
	v_fmac_f64_e32 v[104:105], s[8:9], v[122:123]
	v_fma_f64 v[122:123], -0.5, v[102:103], v[106:107]
	v_add_f64 v[86:87], v[86:87], -v[98:99]
	v_fma_f64 v[140:141], s[10:11], v[86:87], v[122:123]
	v_add_f64 v[90:91], v[90:91], -v[94:95]
	v_add_f64 v[94:95], v[88:89], -v[92:93]
	;; [unrolled: 1-line block ×3, first 2 shown]
	v_fmac_f64_e32 v[122:123], s[4:5], v[86:87]
	v_fmac_f64_e32 v[140:141], s[12:13], v[90:91]
	v_add_f64 v[94:95], v[94:95], v[98:99]
	v_fmac_f64_e32 v[122:123], s[2:3], v[90:91]
	v_fmac_f64_e32 v[140:141], s[8:9], v[94:95]
	v_fmac_f64_e32 v[122:123], s[8:9], v[94:95]
	v_add_f64 v[94:95], v[88:89], v[100:101]
	v_fmac_f64_e32 v[106:107], -0.5, v[94:95]
	v_add_f64 v[8:9], v[142:143], v[154:155]
	v_add_f64 v[32:33], v[142:143], -v[154:155]
	v_fma_f64 v[142:143], s[4:5], v[90:91], v[106:107]
	v_add_f64 v[88:89], v[92:93], -v[88:89]
	v_add_f64 v[92:93], v[96:97], -v[100:101]
	v_fmac_f64_e32 v[106:107], s[10:11], v[90:91]
	v_fmac_f64_e32 v[142:143], s[12:13], v[86:87]
	v_add_f64 v[88:89], v[88:89], v[92:93]
	v_fmac_f64_e32 v[106:107], s[2:3], v[86:87]
	v_fmac_f64_e32 v[142:143], s[8:9], v[88:89]
	;; [unrolled: 1-line block ×3, first 2 shown]
	v_mul_f64 v[150:151], v[104:105], s[18:19]
	v_mul_f64 v[152:153], v[112:113], s[16:17]
	;; [unrolled: 1-line block ×4, first 2 shown]
	v_fmac_f64_e32 v[150:151], s[4:5], v[106:107]
	v_fmac_f64_e32 v[152:153], s[2:3], v[122:123]
	v_mul_f64 v[154:155], v[114:115], s[12:13]
	v_fmac_f64_e32 v[144:145], s[2:3], v[140:141]
	v_fmac_f64_e32 v[148:149], s[8:9], v[118:119]
	v_add_f64 v[102:103], v[82:83], v[150:151]
	v_add_f64 v[98:99], v[4:5], v[152:153]
	v_fmac_f64_e32 v[154:155], s[20:21], v[140:141]
	v_mul_f64 v[140:141], v[118:119], s[10:11]
	v_add_f64 v[118:119], v[82:83], -v[150:151]
	v_add_f64 v[82:83], v[4:5], -v[152:153]
	s_waitcnt lgkmcnt(7)
	v_add_f64 v[4:5], v[0:1], v[66:67]
	s_waitcnt lgkmcnt(5)
	v_add_f64 v[4:5], v[4:5], v[70:71]
	v_fmac_f64_e32 v[140:141], s[8:9], v[142:143]
	v_mul_f64 v[142:143], v[106:107], s[18:19]
	v_mul_f64 v[122:123], v[122:123], s[16:17]
	s_waitcnt lgkmcnt(3)
	v_add_f64 v[4:5], v[4:5], v[74:75]
	v_add_f64 v[94:95], v[132:133], v[110:111]
	v_fmac_f64_e32 v[142:143], s[10:11], v[104:105]
	v_fmac_f64_e32 v[122:123], s[12:13], v[112:113]
	v_add_f64 v[114:115], v[132:133], -v[110:111]
	s_waitcnt lgkmcnt(1)
	v_add_f64 v[132:133], v[4:5], v[78:79]
	v_add_f64 v[4:5], v[70:71], v[74:75]
	;; [unrolled: 1-line block ×6, first 2 shown]
	v_add_f64 v[112:113], v[108:109], -v[154:155]
	v_add_f64 v[108:109], v[120:121], -v[140:141]
	;; [unrolled: 1-line block ×4, first 2 shown]
	v_fma_f64 v[130:131], -0.5, v[4:5], v[0:1]
	v_add_f64 v[4:5], v[68:69], -v[80:81]
	v_add_f64 v[90:91], v[136:137], v[144:145]
	v_add_f64 v[86:87], v[138:139], v[148:149]
	;; [unrolled: 1-line block ×3, first 2 shown]
	v_add_f64 v[110:111], v[136:137], -v[144:145]
	v_add_f64 v[106:107], v[138:139], -v[148:149]
	;; [unrolled: 1-line block ×3, first 2 shown]
	v_fma_f64 v[136:137], s[4:5], v[4:5], v[130:131]
	v_add_f64 v[122:123], v[72:73], -v[76:77]
	v_add_f64 v[134:135], v[66:67], -v[70:71]
	;; [unrolled: 1-line block ×3, first 2 shown]
	v_fmac_f64_e32 v[130:131], s[10:11], v[4:5]
	v_fmac_f64_e32 v[136:137], s[2:3], v[122:123]
	v_add_f64 v[134:135], v[134:135], v[138:139]
	v_fmac_f64_e32 v[130:131], s[12:13], v[122:123]
	v_fmac_f64_e32 v[136:137], s[8:9], v[134:135]
	;; [unrolled: 1-line block ×3, first 2 shown]
	v_add_f64 v[134:135], v[66:67], v[78:79]
	v_fmac_f64_e32 v[0:1], -0.5, v[134:135]
	v_fma_f64 v[140:141], s[10:11], v[122:123], v[0:1]
	v_fmac_f64_e32 v[0:1], s[4:5], v[122:123]
	v_fmac_f64_e32 v[140:141], s[2:3], v[4:5]
	;; [unrolled: 1-line block ×3, first 2 shown]
	v_add_f64 v[4:5], v[2:3], v[68:69]
	v_add_f64 v[134:135], v[70:71], -v[66:67]
	v_add_f64 v[138:139], v[74:75], -v[78:79]
	v_add_f64 v[4:5], v[4:5], v[72:73]
	v_add_f64 v[134:135], v[134:135], v[138:139]
	;; [unrolled: 1-line block ×3, first 2 shown]
	v_fmac_f64_e32 v[140:141], s[8:9], v[134:135]
	v_fmac_f64_e32 v[0:1], s[8:9], v[134:135]
	v_add_f64 v[134:135], v[4:5], v[80:81]
	v_add_f64 v[4:5], v[72:73], v[76:77]
	v_fma_f64 v[4:5], -0.5, v[4:5], v[2:3]
	v_add_f64 v[66:67], v[66:67], -v[78:79]
	v_fma_f64 v[138:139], s[10:11], v[66:67], v[4:5]
	v_add_f64 v[70:71], v[70:71], -v[74:75]
	v_add_f64 v[74:75], v[68:69], -v[72:73]
	v_add_f64 v[78:79], v[80:81], -v[76:77]
	v_fmac_f64_e32 v[4:5], s[4:5], v[66:67]
	v_fmac_f64_e32 v[138:139], s[12:13], v[70:71]
	v_add_f64 v[74:75], v[74:75], v[78:79]
	v_fmac_f64_e32 v[4:5], s[2:3], v[70:71]
	v_fmac_f64_e32 v[138:139], s[8:9], v[74:75]
	;; [unrolled: 1-line block ×3, first 2 shown]
	v_add_f64 v[74:75], v[68:69], v[80:81]
	v_fmac_f64_e32 v[2:3], -0.5, v[74:75]
	v_fma_f64 v[142:143], s[4:5], v[70:71], v[2:3]
	v_fmac_f64_e32 v[2:3], s[10:11], v[70:71]
	v_fmac_f64_e32 v[142:143], s[12:13], v[66:67]
	v_fmac_f64_e32 v[2:3], s[2:3], v[66:67]
	v_add_f64 v[66:67], v[26:27], v[50:51]
	v_add_f64 v[66:67], v[66:67], v[54:55]
	;; [unrolled: 1-line block ×3, first 2 shown]
	v_add_f64 v[68:69], v[72:73], -v[68:69]
	v_add_f64 v[72:73], v[76:77], -v[80:81]
	s_waitcnt lgkmcnt(0)
	v_add_f64 v[70:71], v[66:67], v[62:63]
	v_add_f64 v[66:67], v[54:55], v[58:59]
	;; [unrolled: 1-line block ×3, first 2 shown]
	v_fma_f64 v[72:73], -0.5, v[66:67], v[26:27]
	v_add_f64 v[66:67], v[52:53], -v[64:65]
	v_fmac_f64_e32 v[142:143], s[8:9], v[68:69]
	v_fmac_f64_e32 v[2:3], s[8:9], v[68:69]
	v_fma_f64 v[68:69], s[4:5], v[66:67], v[72:73]
	v_add_f64 v[74:75], v[56:57], -v[60:61]
	v_add_f64 v[76:77], v[50:51], -v[54:55]
	;; [unrolled: 1-line block ×3, first 2 shown]
	v_fmac_f64_e32 v[72:73], s[10:11], v[66:67]
	v_fmac_f64_e32 v[68:69], s[2:3], v[74:75]
	v_add_f64 v[76:77], v[76:77], v[78:79]
	v_fmac_f64_e32 v[72:73], s[12:13], v[74:75]
	v_fmac_f64_e32 v[68:69], s[8:9], v[76:77]
	;; [unrolled: 1-line block ×3, first 2 shown]
	v_add_f64 v[76:77], v[50:51], v[62:63]
	v_fmac_f64_e32 v[26:27], -0.5, v[76:77]
	v_fma_f64 v[78:79], s[10:11], v[74:75], v[26:27]
	v_fmac_f64_e32 v[26:27], s[4:5], v[74:75]
	v_fmac_f64_e32 v[78:79], s[2:3], v[66:67]
	;; [unrolled: 1-line block ×3, first 2 shown]
	v_add_f64 v[66:67], v[28:29], v[52:53]
	v_add_f64 v[76:77], v[54:55], -v[50:51]
	v_add_f64 v[80:81], v[58:59], -v[62:63]
	v_add_f64 v[66:67], v[66:67], v[56:57]
	v_add_f64 v[76:77], v[76:77], v[80:81]
	v_add_f64 v[66:67], v[66:67], v[60:61]
	v_fmac_f64_e32 v[78:79], s[8:9], v[76:77]
	v_fmac_f64_e32 v[26:27], s[8:9], v[76:77]
	v_add_f64 v[76:77], v[66:67], v[64:65]
	v_add_f64 v[66:67], v[56:57], v[60:61]
	v_fma_f64 v[74:75], -0.5, v[66:67], v[28:29]
	v_add_f64 v[50:51], v[50:51], -v[62:63]
	v_fma_f64 v[80:81], s[10:11], v[50:51], v[74:75]
	v_add_f64 v[54:55], v[54:55], -v[58:59]
	v_add_f64 v[58:59], v[52:53], -v[56:57]
	;; [unrolled: 1-line block ×3, first 2 shown]
	v_fmac_f64_e32 v[74:75], s[4:5], v[50:51]
	v_fmac_f64_e32 v[80:81], s[12:13], v[54:55]
	v_add_f64 v[58:59], v[58:59], v[62:63]
	v_fmac_f64_e32 v[74:75], s[2:3], v[54:55]
	v_fmac_f64_e32 v[80:81], s[8:9], v[58:59]
	;; [unrolled: 1-line block ×3, first 2 shown]
	v_add_f64 v[58:59], v[52:53], v[64:65]
	v_fmac_f64_e32 v[28:29], -0.5, v[58:59]
	v_fma_f64 v[122:123], s[4:5], v[54:55], v[28:29]
	v_add_f64 v[52:53], v[56:57], -v[52:53]
	v_add_f64 v[56:57], v[60:61], -v[64:65]
	v_fmac_f64_e32 v[28:29], s[10:11], v[54:55]
	v_fmac_f64_e32 v[122:123], s[12:13], v[50:51]
	v_add_f64 v[52:53], v[52:53], v[56:57]
	v_fmac_f64_e32 v[28:29], s[2:3], v[50:51]
	v_mul_f64 v[144:145], v[68:69], s[20:21]
	v_mul_f64 v[154:155], v[68:69], s[12:13]
	v_fmac_f64_e32 v[122:123], s[8:9], v[52:53]
	v_fmac_f64_e32 v[28:29], s[8:9], v[52:53]
	v_fmac_f64_e32 v[144:145], s[2:3], v[80:81]
	v_fmac_f64_e32 v[154:155], s[20:21], v[80:81]
	v_mul_f64 v[80:81], v[78:79], s[10:11]
	v_mul_f64 v[148:149], v[122:123], s[4:5]
	v_fmac_f64_e32 v[80:81], s[8:9], v[122:123]
	v_mul_f64 v[156:157], v[28:29], s[18:19]
	v_mul_f64 v[122:123], v[74:75], s[16:17]
	;; [unrolled: 1-line block ×3, first 2 shown]
	v_fmac_f64_e32 v[156:157], s[10:11], v[26:27]
	v_fmac_f64_e32 v[122:123], s[12:13], v[72:73]
	;; [unrolled: 1-line block ×3, first 2 shown]
	v_add_f64 v[52:53], v[142:143], v[80:81]
	v_add_f64 v[68:69], v[2:3], v[156:157]
	;; [unrolled: 1-line block ×3, first 2 shown]
	v_add_f64 v[28:29], v[142:143], -v[80:81]
	v_add_f64 v[80:81], v[2:3], -v[156:157]
	;; [unrolled: 1-line block ×3, first 2 shown]
	v_mul_u32_u24_e32 v4, 10, v232
	v_lshlrev_b32_e32 v173, 4, v4
	v_mul_u32_u24_e32 v4, 10, v146
	v_lshlrev_b32_e32 v174, 4, v4
	s_barrier
	ds_write_b128 v173, v[14:17]
	ds_write_b128 v173, v[10:13] offset:16
	ds_write_b128 v173, v[6:9] offset:32
	;; [unrolled: 1-line block ×9, first 2 shown]
	ds_write_b128 v174, v[94:97]
	ds_write_b128 v174, v[90:93] offset:16
	ds_write_b128 v174, v[86:89] offset:32
	;; [unrolled: 1-line block ×9, first 2 shown]
	v_mul_lo_u16_e32 v120, 0x67, v232
	v_lshrrev_b16_e32 v175, 10, v120
	v_mul_lo_u16_e32 v120, 10, v175
	v_mul_f64 v[152:153], v[72:73], s[16:17]
	v_sub_u16_e32 v120, v232, v120
	v_fmac_f64_e32 v[148:149], s[8:9], v[78:79]
	v_fmac_f64_e32 v[152:153], s[2:3], v[74:75]
	v_mul_u32_u24_e32 v4, 10, v186
	v_and_b32_e32 v187, 0xff, v120
	v_mov_b64_e32 v[120:121], s[6:7]
	v_add_f64 v[58:59], v[132:133], v[70:71]
	v_add_f64 v[54:55], v[136:137], v[144:145]
	;; [unrolled: 1-line block ×7, first 2 shown]
	v_add_f64 v[74:75], v[132:133], -v[70:71]
	v_add_f64 v[70:71], v[136:137], -v[144:145]
	;; [unrolled: 1-line block ×7, first 2 shown]
	v_lshlrev_b32_e32 v235, 4, v4
	v_mad_u64_u32 v[122:123], s[22:23], v187, s24, v[120:121]
	ds_write_b128 v235, v[58:61]
	ds_write_b128 v235, v[54:57] offset:16
	ds_write_b128 v235, v[50:53] offset:32
	;; [unrolled: 1-line block ×9, first 2 shown]
	s_waitcnt lgkmcnt(0)
	s_barrier
	ds_read_b128 v[16:19], v240
	ds_read_b128 v[116:119], v240 offset:10240
	ds_read_b128 v[112:115], v240 offset:20480
	;; [unrolled: 1-line block ×29, first 2 shown]
	global_load_dwordx4 v[138:141], v[122:123], off offset:48
	global_load_dwordx4 v[142:145], v[122:123], off offset:32
	global_load_dwordx4 v[148:151], v[122:123], off offset:16
	global_load_dwordx4 v[152:155], v[122:123], off
	s_waitcnt vmcnt(3) lgkmcnt(14)
	v_mul_f64 v[166:167], v[104:105], v[140:141]
	s_waitcnt vmcnt(2)
	v_mul_f64 v[158:159], v[108:109], v[144:145]
	s_waitcnt vmcnt(1)
	;; [unrolled: 2-line block ×3, first 2 shown]
	v_mul_f64 v[130:131], v[118:119], v[154:155]
	v_fma_f64 v[134:135], v[116:117], v[152:153], -v[130:131]
	v_mul_f64 v[136:137], v[116:117], v[154:155]
	v_mul_f64 v[116:117], v[114:115], v[150:151]
	v_fma_f64 v[160:161], v[112:113], v[148:149], -v[116:117]
	v_mul_f64 v[112:113], v[110:111], v[144:145]
	v_fma_f64 v[156:157], v[108:109], v[142:143], -v[112:113]
	;; [unrolled: 2-line block ×3, first 2 shown]
	v_fmac_f64_e32 v[166:167], v[106:107], v[138:139]
	global_load_dwordx4 v[106:109], v[122:123], off offset:64
	v_fmac_f64_e32 v[136:137], v[118:119], v[152:153]
	scratch_store_dwordx4 off, v[152:155], off offset:728 ; 16-byte Folded Spill
	scratch_store_dwordx4 off, v[148:151], off offset:712 ; 16-byte Folded Spill
	;; [unrolled: 1-line block ×4, first 2 shown]
	v_fmac_f64_e32 v[162:163], v[114:115], v[148:149]
	v_fmac_f64_e32 v[158:159], v[110:111], v[142:143]
	s_waitcnt vmcnt(4)
	v_mul_f64 v[104:105], v[102:103], v[108:109]
	v_fma_f64 v[168:169], v[100:101], v[106:107], -v[104:105]
	v_mul_f64 v[170:171], v[100:101], v[108:109]
	v_mul_lo_u16_e32 v100, 0xcd, v146
	v_lshrrev_b16_e32 v188, 11, v100
	v_mul_lo_u16_e32 v100, 10, v188
	v_sub_u16_e32 v100, v146, v100
	v_and_b32_e32 v189, 0xff, v100
	scratch_store_dwordx4 off, v[106:109], off offset:756 ; 16-byte Folded Spill
	v_mad_u64_u32 v[100:101], s[22:23], v189, s24, v[120:121]
	v_fmac_f64_e32 v[170:171], v[102:103], v[106:107]
	global_load_dwordx4 v[104:107], v[100:101], off offset:48
	global_load_dwordx4 v[108:111], v[100:101], off offset:32
	global_load_dwordx4 v[112:115], v[100:101], off offset:16
	global_load_dwordx4 v[116:119], v[100:101], off
	s_mov_b32 s22, 0xe8584caa
	s_mov_b32 s23, 0x3febb67a
	s_mov_b32 s24, s22
	s_waitcnt vmcnt(3)
	v_mul_f64 v[154:155], v[84:85], v[106:107]
	s_waitcnt vmcnt(2)
	v_mul_f64 v[140:141], v[88:89], v[110:111]
	;; [unrolled: 2-line block ×4, first 2 shown]
	v_fma_f64 v[130:131], v[96:97], v[116:117], -v[102:103]
	v_mul_f64 v[132:133], v[96:97], v[118:119]
	v_mul_f64 v[96:97], v[94:95], v[114:115]
	v_fma_f64 v[148:149], v[92:93], v[112:113], -v[96:97]
	v_mul_f64 v[92:93], v[90:91], v[110:111]
	v_fma_f64 v[138:139], v[88:89], v[108:109], -v[92:93]
	;; [unrolled: 2-line block ×3, first 2 shown]
	v_fmac_f64_e32 v[154:155], v[86:87], v[104:105]
	global_load_dwordx4 v[86:89], v[100:101], off offset:64
	v_fmac_f64_e32 v[132:133], v[98:99], v[116:117]
	scratch_store_dwordx4 off, v[116:119], off offset:1104 ; 16-byte Folded Spill
	scratch_store_dwordx4 off, v[112:115], off offset:1072 ; 16-byte Folded Spill
	;; [unrolled: 1-line block ×4, first 2 shown]
	v_fmac_f64_e32 v[150:151], v[94:95], v[112:113]
	v_fmac_f64_e32 v[140:141], v[90:91], v[108:109]
	s_waitcnt vmcnt(4)
	v_mul_f64 v[84:85], v[82:83], v[88:89]
	v_fma_f64 v[142:143], v[80:81], v[86:87], -v[84:85]
	v_mul_f64 v[144:145], v[80:81], v[88:89]
	v_mul_u32_u24_e32 v80, 0x199a, v186
	v_lshrrev_b32_e32 v190, 16, v80
	v_mul_lo_u16_e32 v80, 10, v190
	v_sub_u16_e32 v193, v186, v80
	v_mul_lo_u16_e32 v80, 0x50, v193
	v_mov_b32_e32 v81, v233
	scratch_store_dwordx4 off, v[86:89], off offset:928 ; 16-byte Folded Spill
	v_lshl_add_u64 v[80:81], s[6:7], 0, v[80:81]
	v_fmac_f64_e32 v[144:145], v[82:83], v[86:87]
	global_load_dwordx4 v[84:87], v[80:81], off offset:48
	global_load_dwordx4 v[88:91], v[80:81], off offset:32
	;; [unrolled: 1-line block ×3, first 2 shown]
	global_load_dwordx4 v[96:99], v[80:81], off
	s_waitcnt vmcnt(1)
	v_mul_f64 v[122:123], v[72:73], v[94:95]
	s_waitcnt vmcnt(0)
	v_mul_f64 v[82:83], v[78:79], v[98:99]
	v_fma_f64 v[120:121], v[76:77], v[96:97], -v[82:83]
	global_load_dwordx4 v[80:83], v[80:81], off offset:64
	v_mul_f64 v[76:77], v[76:77], v[98:99]
	v_fmac_f64_e32 v[76:77], v[78:79], v[96:97]
	v_mul_f64 v[78:79], v[74:75], v[94:95]
	v_fma_f64 v[78:79], v[72:73], v[92:93], -v[78:79]
	v_mul_f64 v[72:73], v[70:71], v[90:91]
	v_fma_f64 v[72:73], v[68:69], v[88:89], -v[72:73]
	v_mul_f64 v[68:69], v[68:69], v[90:91]
	v_fmac_f64_e32 v[68:69], v[70:71], v[88:89]
	s_waitcnt lgkmcnt(13)
	v_mul_f64 v[70:71], v[66:67], v[86:87]
	v_fmac_f64_e32 v[122:123], v[74:75], v[92:93]
	v_fma_f64 v[70:71], v[64:65], v[84:85], -v[70:71]
	v_mul_f64 v[74:75], v[64:65], v[86:87]
	scratch_store_dwordx4 off, v[92:95], off offset:1056 ; 16-byte Folded Spill
	scratch_store_dwordx4 off, v[96:99], off offset:1088 ; 16-byte Folded Spill
	;; [unrolled: 1-line block ×4, first 2 shown]
	v_fmac_f64_e32 v[74:75], v[66:67], v[84:85]
	s_waitcnt vmcnt(4) lgkmcnt(12)
	v_mul_f64 v[64:65], v[62:63], v[82:83]
	v_fma_f64 v[64:65], v[60:61], v[80:81], -v[64:65]
	v_mul_f64 v[60:61], v[60:61], v[82:83]
	v_fmac_f64_e32 v[60:61], v[62:63], v[80:81]
	v_mul_u32_u24_e32 v62, 0x199a, v126
	v_lshrrev_b32_e32 v191, 16, v62
	v_mul_lo_u16_e32 v62, 10, v191
	v_sub_u16_e32 v194, v126, v62
	v_mul_lo_u16_e32 v62, 0x50, v194
	v_mov_b32_e32 v63, v233
	scratch_store_dwordx4 off, v[80:83], off offset:848 ; 16-byte Folded Spill
	v_lshl_add_u64 v[62:63], s[6:7], 0, v[62:63]
	global_load_dwordx4 v[84:87], v[62:63], off offset:48
	global_load_dwordx4 v[80:83], v[62:63], off offset:32
	;; [unrolled: 1-line block ×3, first 2 shown]
	global_load_dwordx4 v[98:101], v[62:63], off
	s_waitcnt vmcnt(0) lgkmcnt(10)
	v_mul_f64 v[66:67], v[58:59], v[100:101]
	v_mul_f64 v[92:93], v[56:57], v[100:101]
	scratch_store_dwordx4 off, v[98:101], off offset:1024 ; 16-byte Folded Spill
	v_fma_f64 v[90:91], v[56:57], v[98:99], -v[66:67]
	v_fmac_f64_e32 v[92:93], v[58:59], v[98:99]
	v_mov_b64_e32 v[98:99], v[96:97]
	v_mov_b64_e32 v[96:97], v[94:95]
	s_waitcnt lgkmcnt(9)
	v_mul_f64 v[56:57], v[54:55], v[98:99]
	v_mul_f64 v[94:95], v[52:53], v[98:99]
	v_fma_f64 v[88:89], v[52:53], v[96:97], -v[56:57]
	v_fmac_f64_e32 v[94:95], v[54:55], v[96:97]
	v_mov_b64_e32 v[54:55], v[80:81]
	v_mov_b64_e32 v[56:57], v[82:83]
	s_waitcnt lgkmcnt(8)
	v_mul_f64 v[52:53], v[50:51], v[56:57]
	scratch_store_dwordx4 off, v[96:99], off offset:976 ; 16-byte Folded Spill
	v_fma_f64 v[80:81], v[48:49], v[54:55], -v[52:53]
	v_mul_f64 v[82:83], v[48:49], v[56:57]
	s_waitcnt lgkmcnt(7)
	v_mul_f64 v[48:49], v[46:47], v[86:87]
	v_mul_f64 v[98:99], v[44:45], v[86:87]
	v_fma_f64 v[96:97], v[44:45], v[84:85], -v[48:49]
	v_fmac_f64_e32 v[98:99], v[46:47], v[84:85]
	global_load_dwordx4 v[46:49], v[62:63], off offset:64
	v_fmac_f64_e32 v[82:83], v[50:51], v[54:55]
	scratch_store_dwordx4 off, v[84:87], off offset:816 ; 16-byte Folded Spill
	scratch_store_dwordx4 off, v[54:57], off offset:864 ; 16-byte Folded Spill
	s_waitcnt vmcnt(2) lgkmcnt(6)
	v_mul_f64 v[44:45], v[42:43], v[48:49]
	v_fma_f64 v[84:85], v[40:41], v[46:47], -v[44:45]
	v_mul_f64 v[86:87], v[40:41], v[48:49]
	v_mul_u32_u24_e32 v40, 0x199a, v184
	v_lshrrev_b32_e32 v192, 16, v40
	v_mul_lo_u16_e32 v40, 10, v192
	v_sub_u16_e32 v195, v184, v40
	v_mul_lo_u16_e32 v40, 0x50, v195
	v_mov_b32_e32 v41, v233
	scratch_store_dwordx4 off, v[46:49], off offset:780 ; 16-byte Folded Spill
	v_lshl_add_u64 v[40:41], s[6:7], 0, v[40:41]
	v_fmac_f64_e32 v[86:87], v[42:43], v[46:47]
	global_load_dwordx4 v[44:47], v[40:41], off offset:48
	global_load_dwordx4 v[48:51], v[40:41], off offset:32
	;; [unrolled: 1-line block ×3, first 2 shown]
	global_load_dwordx4 v[56:59], v[40:41], off
	s_waitcnt vmcnt(3) lgkmcnt(1)
	v_mul_f64 v[118:119], v[24:25], v[46:47]
	s_waitcnt vmcnt(2)
	v_mul_f64 v[102:103], v[28:29], v[50:51]
	s_waitcnt vmcnt(1)
	v_mul_f64 v[114:115], v[32:33], v[54:55]
	s_waitcnt vmcnt(0)
	v_mul_f64 v[42:43], v[38:39], v[58:59]
	v_fma_f64 v[110:111], v[36:37], v[56:57], -v[42:43]
	v_mul_f64 v[112:113], v[36:37], v[58:59]
	v_mul_f64 v[36:37], v[34:35], v[54:55]
	v_fma_f64 v[108:109], v[32:33], v[52:53], -v[36:37]
	v_mul_f64 v[32:33], v[30:31], v[50:51]
	v_fma_f64 v[100:101], v[28:29], v[48:49], -v[32:33]
	;; [unrolled: 2-line block ×3, first 2 shown]
	v_fmac_f64_e32 v[118:119], v[26:27], v[44:45]
	global_load_dwordx4 v[26:29], v[40:41], off offset:64
	v_fmac_f64_e32 v[114:115], v[34:35], v[52:53]
	v_fmac_f64_e32 v[112:113], v[38:39], v[56:57]
	;; [unrolled: 1-line block ×3, first 2 shown]
	scratch_store_dwordx4 off, v[48:51], off offset:880 ; 16-byte Folded Spill
	scratch_store_dwordx4 off, v[44:47], off offset:832 ; 16-byte Folded Spill
	;; [unrolled: 1-line block ×4, first 2 shown]
	s_waitcnt vmcnt(4) lgkmcnt(0)
	v_mul_f64 v[24:25], v[22:23], v[28:29]
	v_fma_f64 v[104:105], v[20:21], v[26:27], -v[24:25]
	v_mul_f64 v[106:107], v[20:21], v[28:29]
	v_add_f64 v[20:21], v[16:17], v[160:161]
	v_add_f64 v[32:33], v[20:21], v[164:165]
	;; [unrolled: 1-line block ×3, first 2 shown]
	v_fmac_f64_e32 v[16:17], -0.5, v[20:21]
	v_add_f64 v[20:21], v[162:163], -v[166:167]
	v_fma_f64 v[34:35], s[22:23], v[20:21], v[16:17]
	v_fmac_f64_e32 v[16:17], s[24:25], v[20:21]
	v_add_f64 v[20:21], v[18:19], v[162:163]
	v_add_f64 v[38:39], v[20:21], v[166:167]
	;; [unrolled: 1-line block ×3, first 2 shown]
	v_fmac_f64_e32 v[18:19], -0.5, v[20:21]
	v_add_f64 v[20:21], v[160:161], -v[164:165]
	v_fma_f64 v[40:41], s[24:25], v[20:21], v[18:19]
	v_fmac_f64_e32 v[18:19], s[22:23], v[20:21]
	v_add_f64 v[20:21], v[134:135], v[156:157]
	v_add_f64 v[36:37], v[20:21], v[168:169]
	;; [unrolled: 1-line block ×3, first 2 shown]
	v_fmac_f64_e32 v[134:135], -0.5, v[20:21]
	v_add_f64 v[20:21], v[158:159], -v[170:171]
	v_fmac_f64_e32 v[106:107], v[22:23], v[26:27]
	v_fma_f64 v[22:23], s[22:23], v[20:21], v[134:135]
	v_fmac_f64_e32 v[134:135], s[24:25], v[20:21]
	v_add_f64 v[20:21], v[136:137], v[158:159]
	v_add_f64 v[42:43], v[20:21], v[170:171]
	;; [unrolled: 1-line block ×3, first 2 shown]
	v_fmac_f64_e32 v[136:137], -0.5, v[20:21]
	v_add_f64 v[20:21], v[156:157], -v[168:169]
	v_fma_f64 v[30:31], s[24:25], v[20:21], v[136:137]
	v_mul_f64 v[44:45], v[30:31], s[22:23]
	v_mul_f64 v[48:49], v[22:23], s[24:25]
	v_fmac_f64_e32 v[44:45], 0.5, v[22:23]
	v_fmac_f64_e32 v[48:49], 0.5, v[30:31]
	v_fmac_f64_e32 v[136:137], s[22:23], v[20:21]
	v_add_f64 v[24:25], v[32:33], v[36:37]
	v_add_f64 v[20:21], v[34:35], v[44:45]
	v_add_f64 v[22:23], v[40:41], v[48:49]
	v_add_f64 v[36:37], v[32:33], -v[36:37]
	v_add_f64 v[32:33], v[34:35], -v[44:45]
	;; [unrolled: 1-line block ×3, first 2 shown]
	v_add_f64 v[40:41], v[12:13], v[148:149]
	v_add_f64 v[52:53], v[40:41], v[152:153]
	;; [unrolled: 1-line block ×3, first 2 shown]
	v_fmac_f64_e32 v[12:13], -0.5, v[40:41]
	v_add_f64 v[40:41], v[150:151], -v[154:155]
	v_fma_f64 v[54:55], s[22:23], v[40:41], v[12:13]
	v_fmac_f64_e32 v[12:13], s[24:25], v[40:41]
	v_add_f64 v[40:41], v[14:15], v[150:151]
	v_add_f64 v[58:59], v[40:41], v[154:155]
	;; [unrolled: 1-line block ×3, first 2 shown]
	v_fmac_f64_e32 v[14:15], -0.5, v[40:41]
	v_add_f64 v[40:41], v[148:149], -v[152:153]
	v_fma_f64 v[62:63], s[24:25], v[40:41], v[14:15]
	v_fmac_f64_e32 v[14:15], s[22:23], v[40:41]
	v_add_f64 v[40:41], v[130:131], v[138:139]
	v_add_f64 v[56:57], v[40:41], v[142:143]
	;; [unrolled: 1-line block ×3, first 2 shown]
	v_fmac_f64_e32 v[130:131], -0.5, v[40:41]
	v_add_f64 v[40:41], v[140:141], -v[144:145]
	scratch_store_dwordx4 off, v[26:29], off offset:800 ; 16-byte Folded Spill
	v_mul_f64 v[50:51], v[136:137], -0.5
	v_fmac_f64_e32 v[50:51], s[24:25], v[134:135]
	v_add_f64 v[26:27], v[38:39], v[42:43]
	v_add_f64 v[38:39], v[38:39], -v[42:43]
	v_fma_f64 v[42:43], s[22:23], v[40:41], v[130:131]
	v_fmac_f64_e32 v[130:131], s[24:25], v[40:41]
	v_add_f64 v[40:41], v[132:133], v[140:141]
	v_add_f64 v[66:67], v[40:41], v[144:145]
	;; [unrolled: 1-line block ×3, first 2 shown]
	v_fmac_f64_e32 v[132:133], -0.5, v[40:41]
	v_add_f64 v[40:41], v[138:139], -v[142:143]
	v_add_f64 v[30:31], v[18:19], v[50:51]
	v_add_f64 v[18:19], v[18:19], -v[50:51]
	v_fma_f64 v[50:51], s[24:25], v[40:41], v[132:133]
	v_mul_f64 v[46:47], v[134:135], -0.5
	v_mul_f64 v[134:135], v[50:51], s[22:23]
	v_mul_f64 v[138:139], v[42:43], s[24:25]
	v_fmac_f64_e32 v[46:47], s[22:23], v[136:137]
	v_fmac_f64_e32 v[132:133], s[22:23], v[40:41]
	v_fmac_f64_e32 v[134:135], 0.5, v[42:43]
	v_mul_f64 v[136:137], v[130:131], -0.5
	v_fmac_f64_e32 v[138:139], 0.5, v[50:51]
	v_add_f64 v[44:45], v[52:53], v[56:57]
	v_add_f64 v[40:41], v[54:55], v[134:135]
	v_fmac_f64_e32 v[136:137], s[22:23], v[132:133]
	v_add_f64 v[42:43], v[62:63], v[138:139]
	v_mul_f64 v[132:133], v[132:133], -0.5
	v_add_f64 v[56:57], v[52:53], -v[56:57]
	v_add_f64 v[52:53], v[54:55], -v[134:135]
	;; [unrolled: 1-line block ×3, first 2 shown]
	v_add_f64 v[62:63], v[8:9], v[78:79]
	v_fmac_f64_e32 v[132:133], s[24:25], v[130:131]
	v_add_f64 v[130:131], v[62:63], v[70:71]
	v_add_f64 v[62:63], v[78:79], v[70:71]
	v_fmac_f64_e32 v[8:9], -0.5, v[62:63]
	v_add_f64 v[62:63], v[122:123], -v[74:75]
	v_add_f64 v[50:51], v[14:15], v[132:133]
	v_add_f64 v[14:15], v[14:15], -v[132:133]
	v_fma_f64 v[132:133], s[22:23], v[62:63], v[8:9]
	v_fmac_f64_e32 v[8:9], s[24:25], v[62:63]
	v_add_f64 v[62:63], v[10:11], v[122:123]
	v_add_f64 v[134:135], v[62:63], v[74:75]
	v_add_f64 v[62:63], v[122:123], v[74:75]
	v_fmac_f64_e32 v[10:11], -0.5, v[62:63]
	v_add_f64 v[62:63], v[78:79], -v[70:71]
	v_fma_f64 v[74:75], s[24:25], v[62:63], v[10:11]
	v_fmac_f64_e32 v[10:11], s[22:23], v[62:63]
	v_add_f64 v[62:63], v[120:121], v[72:73]
	v_add_f64 v[78:79], v[62:63], v[64:65]
	v_add_f64 v[62:63], v[72:73], v[64:65]
	v_fmac_f64_e32 v[120:121], -0.5, v[62:63]
	;; [unrolled: 7-line block ×3, first 2 shown]
	v_add_f64 v[60:61], v[72:73], -v[64:65]
	v_add_f64 v[48:49], v[12:13], v[136:137]
	v_add_f64 v[12:13], v[12:13], -v[136:137]
	v_fma_f64 v[62:63], s[24:25], v[60:61], v[76:77]
	v_fmac_f64_e32 v[76:77], s[22:23], v[60:61]
	v_mul_f64 v[136:137], v[120:121], -0.5
	v_add_f64 v[28:29], v[16:17], v[46:47]
	v_add_f64 v[16:17], v[16:17], -v[46:47]
	v_add_f64 v[46:47], v[58:59], v[66:67]
	v_add_f64 v[58:59], v[58:59], -v[66:67]
	v_add_f64 v[64:65], v[130:131], v[78:79]
	v_fmac_f64_e32 v[136:137], s[22:23], v[76:77]
	v_add_f64 v[66:67], v[134:135], v[122:123]
	v_mul_f64 v[140:141], v[76:77], -0.5
	v_add_f64 v[76:77], v[130:131], -v[78:79]
	v_add_f64 v[78:79], v[134:135], -v[122:123]
	v_add_f64 v[122:123], v[88:89], v[96:97]
	v_fmac_f64_e32 v[140:141], s[24:25], v[120:121]
	v_add_f64 v[120:121], v[4:5], v[88:89]
	v_fmac_f64_e32 v[4:5], -0.5, v[122:123]
	v_add_f64 v[122:123], v[94:95], -v[98:99]
	v_fma_f64 v[130:131], s[22:23], v[122:123], v[4:5]
	v_fmac_f64_e32 v[4:5], s[24:25], v[122:123]
	v_add_f64 v[122:123], v[6:7], v[94:95]
	v_add_f64 v[94:95], v[94:95], v[98:99]
	v_fmac_f64_e32 v[6:7], -0.5, v[94:95]
	v_add_f64 v[88:89], v[88:89], -v[96:97]
	v_fma_f64 v[94:95], s[24:25], v[88:89], v[6:7]
	v_fmac_f64_e32 v[6:7], s[22:23], v[88:89]
	v_add_f64 v[88:89], v[90:91], v[80:81]
	v_add_f64 v[120:121], v[120:121], v[96:97]
	;; [unrolled: 1-line block ×4, first 2 shown]
	v_fmac_f64_e32 v[90:91], -0.5, v[88:89]
	v_add_f64 v[88:89], v[82:83], -v[86:87]
	v_add_f64 v[122:123], v[122:123], v[98:99]
	v_fma_f64 v[98:99], s[22:23], v[88:89], v[90:91]
	v_fmac_f64_e32 v[90:91], s[24:25], v[88:89]
	v_add_f64 v[88:89], v[92:93], v[82:83]
	v_add_f64 v[82:83], v[82:83], v[86:87]
	v_mul_f64 v[72:73], v[62:63], s[22:23]
	v_fmac_f64_e32 v[92:93], -0.5, v[82:83]
	v_add_f64 v[80:81], v[80:81], -v[84:85]
	v_fmac_f64_e32 v[72:73], 0.5, v[70:71]
	v_mul_f64 v[138:139], v[70:71], s[24:25]
	v_fma_f64 v[82:83], s[24:25], v[80:81], v[92:93]
	v_add_f64 v[60:61], v[132:133], v[72:73]
	v_fmac_f64_e32 v[138:139], 0.5, v[62:63]
	v_add_f64 v[72:73], v[132:133], -v[72:73]
	v_add_f64 v[132:133], v[88:89], v[86:87]
	v_mul_f64 v[134:135], v[82:83], s[22:23]
	v_add_f64 v[62:63], v[74:75], v[138:139]
	v_add_f64 v[74:75], v[74:75], -v[138:139]
	v_fmac_f64_e32 v[134:135], 0.5, v[98:99]
	v_add_f64 v[86:87], v[122:123], v[132:133]
	v_mul_f64 v[138:139], v[98:99], s[24:25]
	v_add_f64 v[98:99], v[122:123], -v[132:133]
	v_add_f64 v[122:123], v[108:109], v[116:117]
	v_add_f64 v[68:69], v[8:9], v[136:137]
	v_add_f64 v[8:9], v[8:9], -v[136:137]
	v_fmac_f64_e32 v[92:93], s[22:23], v[80:81]
	v_add_f64 v[84:85], v[120:121], v[96:97]
	v_mul_f64 v[136:137], v[90:91], -0.5
	v_add_f64 v[96:97], v[120:121], -v[96:97]
	v_add_f64 v[120:121], v[0:1], v[108:109]
	v_fmac_f64_e32 v[0:1], -0.5, v[122:123]
	v_add_f64 v[122:123], v[114:115], -v[118:119]
	v_add_f64 v[70:71], v[10:11], v[140:141]
	v_add_f64 v[10:11], v[10:11], -v[140:141]
	v_add_f64 v[80:81], v[130:131], v[134:135]
	v_fmac_f64_e32 v[136:137], s[22:23], v[92:93]
	v_mul_f64 v[140:141], v[92:93], -0.5
	v_add_f64 v[92:93], v[130:131], -v[134:135]
	v_fma_f64 v[130:131], s[22:23], v[122:123], v[0:1]
	v_fmac_f64_e32 v[0:1], s[24:25], v[122:123]
	v_add_f64 v[122:123], v[2:3], v[114:115]
	v_add_f64 v[114:115], v[114:115], v[118:119]
	v_fmac_f64_e32 v[2:3], -0.5, v[114:115]
	v_add_f64 v[108:109], v[108:109], -v[116:117]
	v_fma_f64 v[114:115], s[24:25], v[108:109], v[2:3]
	v_fmac_f64_e32 v[2:3], s[22:23], v[108:109]
	v_add_f64 v[108:109], v[110:111], v[100:101]
	v_add_f64 v[120:121], v[120:121], v[116:117]
	;; [unrolled: 1-line block ×4, first 2 shown]
	v_fmac_f64_e32 v[110:111], -0.5, v[108:109]
	v_add_f64 v[108:109], v[102:103], -v[106:107]
	v_add_f64 v[122:123], v[122:123], v[118:119]
	v_fma_f64 v[118:119], s[22:23], v[108:109], v[110:111]
	v_fmac_f64_e32 v[110:111], s[24:25], v[108:109]
	v_add_f64 v[108:109], v[112:113], v[102:103]
	v_add_f64 v[102:103], v[102:103], v[106:107]
	v_add_f64 v[100:101], v[100:101], -v[104:105]
	v_add_f64 v[104:105], v[120:121], v[116:117]
	v_add_f64 v[116:117], v[120:121], -v[116:117]
	v_mul_u32_u24_e32 v120, 60, v175
	v_fmac_f64_e32 v[112:113], -0.5, v[102:103]
	v_add_lshl_u32 v175, v120, v187, 4
	v_fma_f64 v[102:103], s[24:25], v[100:101], v[112:113]
	s_barrier
	ds_write_b128 v175, v[24:27]
	ds_write_b128 v175, v[20:23] offset:160
	ds_write_b128 v175, v[28:31] offset:320
	;; [unrolled: 1-line block ×5, first 2 shown]
	v_mul_u32_u24_e32 v16, 60, v188
	v_mul_f64 v[134:135], v[102:103], s[22:23]
	v_add_lshl_u32 v16, v16, v189, 4
	v_add_f64 v[88:89], v[4:5], v[136:137]
	v_fmac_f64_e32 v[140:141], s[24:25], v[90:91]
	v_add_f64 v[4:5], v[4:5], -v[136:137]
	v_fmac_f64_e32 v[112:113], s[22:23], v[100:101]
	v_fmac_f64_e32 v[134:135], 0.5, v[118:119]
	v_mul_f64 v[136:137], v[110:111], -0.5
	scratch_store_dword off, v16, off offset:148 ; 4-byte Folded Spill
	ds_write_b128 v16, v[44:47]
	ds_write_b128 v16, v[40:43] offset:160
	ds_write_b128 v16, v[48:51] offset:320
	;; [unrolled: 1-line block ×5, first 2 shown]
	v_mad_legacy_u16 v12, v190, 60, v193
	v_mul_lo_u16_e32 v120, 0x89, v232
	v_add_f64 v[90:91], v[6:7], v[140:141]
	v_add_f64 v[6:7], v[6:7], -v[140:141]
	v_add_f64 v[100:101], v[130:131], v[134:135]
	v_fmac_f64_e32 v[136:137], s[22:23], v[112:113]
	v_mul_f64 v[140:141], v[112:113], -0.5
	v_add_f64 v[112:113], v[130:131], -v[134:135]
	v_lshlrev_b32_e32 v234, 4, v12
	v_lshrrev_b16_e32 v131, 13, v120
	v_fmac_f64_e32 v[138:139], 0.5, v[82:83]
	ds_write_b128 v234, v[64:67]
	ds_write_b128 v234, v[60:63] offset:160
	ds_write_b128 v234, v[68:71] offset:320
	ds_write_b128 v234, v[76:79] offset:480
	ds_write_b128 v234, v[72:75] offset:640
	ds_write_b128 v234, v[8:11] offset:800
	v_mad_legacy_u16 v8, v191, 60, v194
	v_mul_lo_u16_e32 v120, 60, v131
	v_add_f64 v[82:83], v[94:95], v[138:139]
	v_add_f64 v[94:95], v[94:95], -v[138:139]
	v_add_f64 v[132:133], v[108:109], v[106:107]
	v_mul_f64 v[138:139], v[118:119], s[24:25]
	v_lshlrev_b32_e32 v8, 4, v8
	v_sub_u16_e32 v120, v232, v120
	v_add_f64 v[106:107], v[122:123], v[132:133]
	v_fmac_f64_e32 v[138:139], 0.5, v[102:103]
	v_fmac_f64_e32 v[140:141], s[24:25], v[110:111]
	v_add_f64 v[118:119], v[122:123], -v[132:133]
	scratch_store_dword off, v8, off offset:56 ; 4-byte Folded Spill
	ds_write_b128 v8, v[84:87]
	ds_write_b128 v8, v[80:83] offset:160
	ds_write_b128 v8, v[88:91] offset:320
	;; [unrolled: 1-line block ×5, first 2 shown]
	v_mad_legacy_u16 v4, v192, 60, v195
	v_and_b32_e32 v132, 0xff, v120
	v_add_f64 v[108:109], v[0:1], v[136:137]
	v_add_f64 v[102:103], v[114:115], v[138:139]
	;; [unrolled: 1-line block ×3, first 2 shown]
	v_add_f64 v[0:1], v[0:1], -v[136:137]
	v_add_f64 v[114:115], v[114:115], -v[138:139]
	;; [unrolled: 1-line block ×3, first 2 shown]
	v_lshlrev_b32_e32 v4, 4, v4
	v_lshlrev_b32_e32 v120, 4, v132
	scratch_store_dword off, v4, off offset:52 ; 4-byte Folded Spill
	ds_write_b128 v4, v[104:107]
	ds_write_b128 v4, v[100:103] offset:160
	ds_write_b128 v4, v[108:111] offset:320
	;; [unrolled: 1-line block ×5, first 2 shown]
	s_waitcnt lgkmcnt(0)
	s_barrier
	ds_read_b128 v[56:59], v240
	ds_read_b128 v[116:119], v240 offset:30720
	ds_read_b128 v[52:55], v240 offset:2048
	;; [unrolled: 1-line block ×29, first 2 shown]
	global_load_dwordx4 v[134:137], v120, s[6:7] offset:800
	v_mul_lo_u16_e32 v130, 0x89, v146
	v_lshrrev_b16_e32 v133, 13, v130
	v_mul_u32_u24_e32 v142, 0x445, v184
	v_lshrrev_b32_e32 v152, 16, v142
	v_mul_u32_u24_e32 v143, 0x445, v185
	v_lshrrev_b32_e32 v154, 16, v143
	;; [unrolled: 2-line block ×7, first 2 shown]
	s_waitcnt vmcnt(0) lgkmcnt(14)
	v_mul_f64 v[120:121], v[118:119], v[136:137]
	v_fma_f64 v[120:121], v[116:117], v[134:135], -v[120:121]
	v_mul_f64 v[116:117], v[116:117], v[136:137]
	v_fmac_f64_e32 v[116:117], v[118:119], v[134:135]
	v_mul_lo_u16_e32 v118, 60, v133
	v_sub_u16_e32 v118, v146, v118
	v_and_b32_e32 v145, 0xff, v118
	v_lshlrev_b32_e32 v118, 4, v145
	scratch_store_dwordx4 off, v[134:137], off offset:1120 ; 16-byte Folded Spill
	global_load_dwordx4 v[134:137], v118, s[6:7] offset:800
	s_waitcnt vmcnt(0)
	v_mul_f64 v[118:119], v[114:115], v[136:137]
	v_fma_f64 v[122:123], v[112:113], v[134:135], -v[118:119]
	v_mul_f64 v[118:119], v[112:113], v[136:137]
	v_mul_u32_u24_e32 v112, 0x445, v186
	v_lshrrev_b32_e32 v148, 16, v112
	v_mul_lo_u16_e32 v112, 60, v148
	v_sub_u16_e32 v149, v186, v112
	v_lshlrev_b32_e32 v112, 4, v149
	scratch_store_dwordx4 off, v[134:137], off offset:1136 ; 16-byte Folded Spill
	v_fmac_f64_e32 v[118:119], v[114:115], v[134:135]
	global_load_dwordx4 v[134:137], v112, s[6:7] offset:800
	s_waitcnt vmcnt(0)
	v_mul_f64 v[112:113], v[110:111], v[136:137]
	v_fma_f64 v[112:113], v[108:109], v[134:135], -v[112:113]
	v_mul_f64 v[108:109], v[108:109], v[136:137]
	v_fmac_f64_e32 v[108:109], v[110:111], v[134:135]
	v_mul_u32_u24_e32 v110, 0x445, v126
	v_lshrrev_b32_e32 v150, 16, v110
	v_mul_lo_u16_e32 v110, 60, v150
	v_sub_u16_e32 v151, v126, v110
	v_lshlrev_b32_e32 v110, 4, v151
	scratch_store_dwordx4 off, v[134:137], off offset:1152 ; 16-byte Folded Spill
	global_load_dwordx4 v[134:137], v110, s[6:7] offset:800
	s_waitcnt vmcnt(0)
	v_mul_f64 v[110:111], v[106:107], v[136:137]
	v_fma_f64 v[114:115], v[104:105], v[134:135], -v[110:111]
	v_mul_f64 v[110:111], v[104:105], v[136:137]
	v_mul_lo_u16_e32 v104, 60, v152
	v_sub_u16_e32 v153, v184, v104
	v_lshlrev_b32_e32 v104, 4, v153
	scratch_store_dwordx4 off, v[134:137], off offset:1168 ; 16-byte Folded Spill
	v_fmac_f64_e32 v[110:111], v[106:107], v[134:135]
	global_load_dwordx4 v[134:137], v104, s[6:7] offset:800
	s_waitcnt vmcnt(0)
	v_mul_f64 v[104:105], v[102:103], v[136:137]
	v_fma_f64 v[104:105], v[100:101], v[134:135], -v[104:105]
	v_mul_f64 v[100:101], v[100:101], v[136:137]
	v_fmac_f64_e32 v[100:101], v[102:103], v[134:135]
	v_mul_lo_u16_e32 v102, 60, v154
	v_sub_u16_e32 v155, v185, v102
	v_lshlrev_b32_e32 v102, 4, v155
	scratch_store_dwordx4 off, v[134:137], off offset:1184 ; 16-byte Folded Spill
	global_load_dwordx4 v[134:137], v102, s[6:7] offset:800
	s_waitcnt vmcnt(0)
	v_mul_f64 v[102:103], v[98:99], v[136:137]
	v_fma_f64 v[106:107], v[96:97], v[134:135], -v[102:103]
	v_mul_f64 v[102:103], v[96:97], v[136:137]
	v_mul_lo_u16_e32 v96, 60, v156
	v_sub_u16_e32 v157, v183, v96
	v_lshlrev_b32_e32 v96, 4, v157
	scratch_store_dwordx4 off, v[134:137], off offset:1200 ; 16-byte Folded Spill
	v_fmac_f64_e32 v[102:103], v[98:99], v[134:135]
	global_load_dwordx4 v[134:137], v96, s[6:7] offset:800
	v_add_f64 v[102:103], v[38:39], -v[102:103]
	v_fma_f64 v[38:39], v[38:39], 2.0, -v[102:103]
	s_waitcnt vmcnt(0)
	v_mul_f64 v[96:97], v[94:95], v[136:137]
	v_fma_f64 v[96:97], v[92:93], v[134:135], -v[96:97]
	v_mul_f64 v[92:93], v[92:93], v[136:137]
	v_fmac_f64_e32 v[92:93], v[94:95], v[134:135]
	v_mul_lo_u16_e32 v94, 60, v158
	v_sub_u16_e32 v159, v124, v94
	v_lshlrev_b32_e32 v94, 4, v159
	scratch_store_dwordx4 off, v[134:137], off offset:1216 ; 16-byte Folded Spill
	global_load_dwordx4 v[134:137], v94, s[6:7] offset:800
	s_waitcnt vmcnt(0)
	v_mul_f64 v[94:95], v[90:91], v[136:137]
	v_fma_f64 v[98:99], v[88:89], v[134:135], -v[94:95]
	v_mul_f64 v[94:95], v[88:89], v[136:137]
	v_mul_lo_u16_e32 v88, 60, v128
	v_sub_u16_e32 v129, v182, v88
	v_accvgpr_write_b32 a251, v137
	v_lshlrev_b32_e32 v88, 4, v129
	v_fmac_f64_e32 v[94:95], v[90:91], v[134:135]
	v_accvgpr_write_b32 a250, v136
	v_accvgpr_write_b32 a249, v135
	;; [unrolled: 1-line block ×3, first 2 shown]
	global_load_dwordx4 v[134:137], v88, s[6:7] offset:800
	v_add_f64 v[94:95], v[30:31], -v[94:95]
	v_fma_f64 v[30:31], v[30:31], 2.0, -v[94:95]
	s_waitcnt vmcnt(0) lgkmcnt(12)
	v_mul_f64 v[88:89], v[86:87], v[136:137]
	v_fma_f64 v[88:89], v[84:85], v[134:135], -v[88:89]
	v_mul_f64 v[84:85], v[84:85], v[136:137]
	v_fmac_f64_e32 v[84:85], v[86:87], v[134:135]
	v_mul_lo_u16_e32 v86, 60, v187
	v_sub_u16_e32 v192, v177, v86
	v_accvgpr_write_b32 a247, v137
	v_lshlrev_b32_e32 v86, 4, v192
	v_accvgpr_write_b32 a246, v136
	v_accvgpr_write_b32 a245, v135
	;; [unrolled: 1-line block ×3, first 2 shown]
	global_load_dwordx4 v[134:137], v86, s[6:7] offset:800
	v_add_f64 v[84:85], v[26:27], -v[84:85]
	v_fma_f64 v[26:27], v[26:27], 2.0, -v[84:85]
	s_waitcnt vmcnt(0) lgkmcnt(10)
	v_mul_f64 v[86:87], v[82:83], v[136:137]
	v_fma_f64 v[90:91], v[80:81], v[134:135], -v[86:87]
	v_mul_f64 v[86:87], v[80:81], v[136:137]
	v_mul_lo_u16_e32 v80, 60, v193
	v_sub_u16_e32 v194, v178, v80
	v_accvgpr_write_b32 a235, v137
	v_lshlrev_b32_e32 v80, 4, v194
	v_fmac_f64_e32 v[86:87], v[82:83], v[134:135]
	v_accvgpr_write_b32 a234, v136
	v_accvgpr_write_b32 a233, v135
	;; [unrolled: 1-line block ×3, first 2 shown]
	global_load_dwordx4 v[134:137], v80, s[6:7] offset:800
	v_add_f64 v[82:83], v[24:25], -v[88:89]
	v_fma_f64 v[24:25], v[24:25], 2.0, -v[82:83]
	v_add_f64 v[88:89], v[20:21], -v[90:91]
	v_add_f64 v[90:91], v[22:23], -v[86:87]
	v_fma_f64 v[20:21], v[20:21], 2.0, -v[88:89]
	v_fma_f64 v[22:23], v[22:23], 2.0, -v[90:91]
	s_waitcnt vmcnt(0) lgkmcnt(8)
	v_mul_f64 v[80:81], v[78:79], v[136:137]
	v_accvgpr_write_b32 a231, v137
	v_fma_f64 v[80:81], v[76:77], v[134:135], -v[80:81]
	v_mul_f64 v[76:77], v[76:77], v[136:137]
	v_accvgpr_write_b32 a230, v136
	v_accvgpr_write_b32 a229, v135
	v_accvgpr_write_b32 a228, v134
	v_mul_u32_u24_e32 v137, 0x889, v181
	v_lshrrev_b32_e32 v195, 17, v137
	v_fmac_f64_e32 v[76:77], v[78:79], v[134:135]
	v_mul_lo_u16_e32 v78, 60, v195
	v_sub_u16_e32 v196, v181, v78
	v_lshlrev_b32_e32 v78, 4, v196
	global_load_dwordx4 v[162:165], v78, s[6:7] offset:800
	v_mul_u32_u24_e32 v136, 0x889, v176
	v_lshrrev_b32_e32 v197, 17, v136
	v_mul_u32_u24_e32 v135, 0x889, v179
	v_lshrrev_b32_e32 v199, 17, v135
	;; [unrolled: 2-line block ×3, first 2 shown]
	s_waitcnt vmcnt(0) lgkmcnt(6)
	v_mul_f64 v[78:79], v[74:75], v[164:165]
	v_mov_b64_e32 v[166:167], v[164:165]
	v_fma_f64 v[160:161], v[72:73], v[162:163], -v[78:79]
	v_mov_b64_e32 v[164:165], v[162:163]
	v_mul_f64 v[162:163], v[72:73], v[166:167]
	v_mul_lo_u16_e32 v72, 60, v197
	v_sub_u16_e32 v198, v176, v72
	v_lshlrev_b32_e32 v72, 4, v198
	global_load_dwordx4 v[168:171], v72, s[6:7] offset:800
	v_accvgpr_write_b32 a219, v167
	v_fmac_f64_e32 v[162:163], v[74:75], v[164:165]
	v_accvgpr_write_b32 a218, v166
	v_accvgpr_write_b32 a217, v165
	;; [unrolled: 1-line block ×3, first 2 shown]
	v_add_f64 v[78:79], v[16:17], -v[80:81]
	v_add_f64 v[80:81], v[18:19], -v[76:77]
	v_mul_u32_u24_e32 v76, 0x78, v131
	v_add_lshl_u32 v76, v76, v132, 4
	v_add_f64 v[74:75], v[46:47], -v[110:111]
	v_fma_f64 v[46:47], v[46:47], 2.0, -v[74:75]
	v_add_f64 v[110:111], v[42:43], -v[100:101]
	v_fma_f64 v[42:43], v[42:43], 2.0, -v[110:111]
	;; [unrolled: 2-line block ×5, first 2 shown]
	v_fma_f64 v[16:17], v[16:17], 2.0, -v[78:79]
	v_fma_f64 v[18:19], v[18:19], 2.0, -v[80:81]
	v_add_f64 v[98:99], v[14:15], -v[162:163]
	v_fma_f64 v[14:15], v[14:15], 2.0, -v[98:99]
	v_mul_u32_u24_e32 v132, 0x223, v126
	s_waitcnt vmcnt(0) lgkmcnt(4)
	v_mul_f64 v[72:73], v[70:71], v[170:171]
	v_fma_f64 v[164:165], v[68:69], v[168:169], -v[72:73]
	v_mul_f64 v[166:167], v[68:69], v[170:171]
	v_mul_lo_u16_e32 v68, 60, v199
	v_sub_u16_e32 v200, v179, v68
	v_lshlrev_b32_e32 v68, 4, v200
	v_fmac_f64_e32 v[166:167], v[70:71], v[168:169]
	global_load_dwordx4 v[70:73], v68, s[6:7] offset:800
	v_accvgpr_write_b32 a215, v171
	v_accvgpr_write_b32 a214, v170
	;; [unrolled: 1-line block ×4, first 2 shown]
	s_waitcnt vmcnt(0) lgkmcnt(2)
	v_mul_f64 v[68:69], v[66:67], v[72:73]
	v_fma_f64 v[168:169], v[64:65], v[70:71], -v[68:69]
	v_mul_f64 v[170:171], v[64:65], v[72:73]
	v_mul_lo_u16_e32 v64, 60, v201
	v_sub_u16_e32 v202, v180, v64
	v_lshlrev_b32_e32 v64, 4, v202
	v_fmac_f64_e32 v[170:171], v[66:67], v[70:71]
	global_load_dwordx4 v[66:69], v64, s[6:7] offset:800
	s_waitcnt lgkmcnt(0)
	s_barrier
	scratch_store_dword off, v76, off offset:612 ; 4-byte Folded Spill
	v_accvgpr_write_b32 a195, v73
	v_accvgpr_write_b32 a194, v72
	;; [unrolled: 1-line block ×4, first 2 shown]
	v_add_f64 v[70:71], v[50:51], -v[108:109]
	v_fma_f64 v[50:51], v[50:51], 2.0, -v[70:71]
	v_add_f64 v[72:73], v[44:45], -v[114:115]
	v_fma_f64 v[44:45], v[44:45], 2.0, -v[72:73]
	;; [unrolled: 2-line block ×6, first 2 shown]
	s_waitcnt vmcnt(1)
	v_mul_f64 v[64:65], v[62:63], v[68:69]
	v_mul_f64 v[190:191], v[60:61], v[68:69]
	v_fma_f64 v[188:189], v[60:61], v[66:67], -v[64:65]
	v_fmac_f64_e32 v[190:191], v[62:63], v[66:67]
	v_add_f64 v[60:61], v[56:57], -v[120:121]
	v_add_f64 v[62:63], v[58:59], -v[116:117]
	v_accvgpr_write_b32 a191, v69
	v_fma_f64 v[56:57], v[56:57], 2.0, -v[60:61]
	v_fma_f64 v[58:59], v[58:59], 2.0, -v[62:63]
	v_accvgpr_write_b32 a190, v68
	v_accvgpr_write_b32 a189, v67
	;; [unrolled: 1-line block ×3, first 2 shown]
	v_add_f64 v[64:65], v[52:53], -v[122:123]
	v_add_f64 v[66:67], v[54:55], -v[118:119]
	ds_write_b128 v76, v[56:59]
	ds_write_b128 v76, v[60:63] offset:960
	v_mul_u32_u24_e32 v56, 0x78, v133
	v_fma_f64 v[52:53], v[52:53], 2.0, -v[64:65]
	v_fma_f64 v[54:55], v[54:55], 2.0, -v[66:67]
	v_add_lshl_u32 v56, v56, v145, 4
	v_add_f64 v[68:69], v[48:49], -v[112:113]
	scratch_store_dword off, v56, off offset:604 ; 4-byte Folded Spill
	ds_write_b128 v56, v[52:55]
	ds_write_b128 v56, v[64:67] offset:960
	v_mad_legacy_u16 v52, v148, s34, v149
	v_fma_f64 v[48:49], v[48:49], 2.0, -v[68:69]
	v_lshlrev_b32_e32 v52, 4, v52
	scratch_store_dword off, v52, off offset:600 ; 4-byte Folded Spill
	ds_write_b128 v52, v[48:51]
	ds_write_b128 v52, v[68:71] offset:960
	v_mad_legacy_u16 v48, v150, s34, v151
	v_lshlrev_b32_e32 v48, 4, v48
	scratch_store_dword off, v48, off offset:596 ; 4-byte Folded Spill
	ds_write_b128 v48, v[44:47]
	ds_write_b128 v48, v[72:75] offset:960
	v_mad_legacy_u16 v44, v152, s34, v153
	;; [unrolled: 5-line block ×9, first 2 shown]
	v_lshlrev_b32_e32 v16, 4, v16
	v_add_f64 v[112:113], v[8:9], -v[164:165]
	scratch_store_dword off, v16, off offset:292 ; 4-byte Folded Spill
	ds_write_b128 v16, v[12:15]
	ds_write_b128 v16, v[96:99] offset:960
	v_mad_legacy_u16 v12, v197, s34, v198
	v_fma_f64 v[8:9], v[8:9], 2.0, -v[112:113]
	v_lshlrev_b32_e32 v12, 4, v12
	v_add_f64 v[116:117], v[4:5], -v[168:169]
	v_add_f64 v[118:119], v[6:7], -v[170:171]
	scratch_store_dword off, v12, off offset:208 ; 4-byte Folded Spill
	ds_write_b128 v12, v[8:11]
	ds_write_b128 v12, v[112:115] offset:960
	v_mad_legacy_u16 v8, v199, s34, v200
	v_fma_f64 v[4:5], v[4:5], 2.0, -v[116:117]
	v_fma_f64 v[6:7], v[6:7], 2.0, -v[118:119]
	v_lshlrev_b32_e32 v8, 4, v8
	v_add_f64 v[120:121], v[0:1], -v[188:189]
	v_add_f64 v[122:123], v[2:3], -v[190:191]
	scratch_store_dword off, v8, off offset:188 ; 4-byte Folded Spill
	ds_write_b128 v8, v[4:7]
	ds_write_b128 v8, v[116:119] offset:960
	v_mad_legacy_u16 v4, v201, s34, v202
	v_fma_f64 v[0:1], v[0:1], 2.0, -v[120:121]
	v_fma_f64 v[2:3], v[2:3], 2.0, -v[122:123]
	v_lshlrev_b32_e32 v4, 4, v4
	scratch_store_dword off, v4, off offset:184 ; 4-byte Folded Spill
	ds_write_b128 v4, v[0:3]
	ds_write_b128 v4, v[120:123] offset:960
	v_lshl_add_u64 v[120:121], v[232:233], 0, s[36:37]
	v_cndmask_b32_e64 v121, v121, 0, vcc
	v_cndmask_b32_e32 v120, v120, v232, vcc
	v_lshl_add_u64 v[122:123], v[120:121], 4, s[6:7]
	s_waitcnt lgkmcnt(0)
	s_barrier
	ds_read_b128 v[56:59], v240
	ds_read_b128 v[116:119], v240 offset:30720
	ds_read_b128 v[52:55], v240 offset:2048
	;; [unrolled: 1-line block ×29, first 2 shown]
	global_load_dwordx4 v[148:151], v[122:123], off offset:1760
	v_lshrrev_b16_e32 v121, 14, v130
	v_lshrrev_b32_e32 v128, 18, v140
	v_lshrrev_b32_e32 v193, 18, v138
	;; [unrolled: 1-line block ×6, first 2 shown]
	s_movk_i32 s34, 0x77
	v_cmp_lt_u32_e32 vcc, s34, v232
	s_movk_i32 s34, 0xf0
	s_movk_i32 s36, 0xffa0
	s_mov_b32 s37, -1
	s_waitcnt vmcnt(0) lgkmcnt(14)
	v_mul_f64 v[122:123], v[118:119], v[150:151]
	v_fma_f64 v[122:123], v[116:117], v[148:149], -v[122:123]
	v_mul_f64 v[116:117], v[116:117], v[150:151]
	v_fmac_f64_e32 v[116:117], v[118:119], v[148:149]
	v_mul_lo_u16_e32 v118, 0x78, v121
	v_sub_u16_e32 v118, v146, v118
	v_and_b32_e32 v133, 0xff, v118
	v_accvgpr_write_b32 a255, v151
	v_lshlrev_b32_e32 v118, 4, v133
	v_accvgpr_write_b32 a254, v150
	v_accvgpr_write_b32 a253, v149
	v_accvgpr_write_b32 a252, v148
	global_load_dwordx4 v[148:151], v118, s[6:7] offset:1760
	s_waitcnt vmcnt(0)
	v_mul_f64 v[118:119], v[114:115], v[150:151]
	v_fma_f64 v[130:131], v[112:113], v[148:149], -v[118:119]
	v_mul_f64 v[118:119], v[112:113], v[150:151]
	v_mul_u32_u24_e32 v112, 0x223, v186
	v_lshrrev_b32_e32 v145, 16, v112
	v_accvgpr_write_b32 a243, v151
	v_mul_lo_u16_e32 v112, 0x78, v145
	v_fmac_f64_e32 v[118:119], v[114:115], v[148:149]
	v_accvgpr_write_b32 a242, v150
	v_accvgpr_write_b32 a241, v149
	;; [unrolled: 1-line block ×3, first 2 shown]
	v_sub_u16_e32 v148, v186, v112
	v_lshlrev_b32_e32 v112, 4, v148
	global_load_dwordx4 v[150:153], v112, s[6:7] offset:1760
	v_lshrrev_b32_e32 v149, 16, v132
	s_waitcnt vmcnt(0)
	v_mul_f64 v[112:113], v[110:111], v[152:153]
	v_fma_f64 v[112:113], v[108:109], v[150:151], -v[112:113]
	v_mul_f64 v[108:109], v[108:109], v[152:153]
	v_fmac_f64_e32 v[108:109], v[110:111], v[150:151]
	v_accvgpr_write_b32 a239, v153
	v_mul_lo_u16_e32 v110, 0x78, v149
	v_accvgpr_write_b32 a238, v152
	v_accvgpr_write_b32 a237, v151
	;; [unrolled: 1-line block ×3, first 2 shown]
	v_sub_u16_e32 v150, v126, v110
	v_lshlrev_b32_e32 v110, 4, v150
	global_load_dwordx4 v[152:155], v110, s[6:7] offset:1760
	v_lshrrev_b32_e32 v151, 17, v142
	s_waitcnt vmcnt(0)
	v_mul_f64 v[110:111], v[106:107], v[154:155]
	v_fma_f64 v[114:115], v[104:105], v[152:153], -v[110:111]
	v_mul_f64 v[110:111], v[104:105], v[154:155]
	v_accvgpr_write_b32 a227, v155
	v_mul_lo_u16_e32 v104, 0x78, v151
	v_fmac_f64_e32 v[110:111], v[106:107], v[152:153]
	v_accvgpr_write_b32 a226, v154
	v_accvgpr_write_b32 a225, v153
	;; [unrolled: 1-line block ×3, first 2 shown]
	v_sub_u16_e32 v152, v184, v104
	v_lshlrev_b32_e32 v104, 4, v152
	global_load_dwordx4 v[154:157], v104, s[6:7] offset:1760
	v_lshrrev_b32_e32 v153, 17, v143
	s_waitcnt vmcnt(0)
	v_mul_f64 v[104:105], v[102:103], v[156:157]
	v_fma_f64 v[104:105], v[100:101], v[154:155], -v[104:105]
	v_mul_f64 v[100:101], v[100:101], v[156:157]
	v_fmac_f64_e32 v[100:101], v[102:103], v[154:155]
	v_accvgpr_write_b32 a223, v157
	v_mul_lo_u16_e32 v102, 0x78, v153
	v_accvgpr_write_b32 a222, v156
	v_accvgpr_write_b32 a221, v155
	;; [unrolled: 1-line block ×3, first 2 shown]
	v_sub_u16_e32 v154, v185, v102
	v_lshlrev_b32_e32 v102, 4, v154
	global_load_dwordx4 v[156:159], v102, s[6:7] offset:1760
	v_lshrrev_b32_e32 v155, 17, v144
	s_waitcnt vmcnt(0)
	v_mul_f64 v[102:103], v[98:99], v[158:159]
	v_fma_f64 v[106:107], v[96:97], v[156:157], -v[102:103]
	v_mul_f64 v[102:103], v[96:97], v[158:159]
	v_accvgpr_write_b32 a211, v159
	v_mul_lo_u16_e32 v96, 0x78, v155
	v_fmac_f64_e32 v[102:103], v[98:99], v[156:157]
	v_accvgpr_write_b32 a210, v158
	v_accvgpr_write_b32 a209, v157
	;; [unrolled: 1-line block ×3, first 2 shown]
	v_sub_u16_e32 v156, v183, v96
	v_lshlrev_b32_e32 v96, 4, v156
	global_load_dwordx4 v[158:161], v96, s[6:7] offset:1760
	v_lshrrev_b32_e32 v157, 17, v141
	v_add_f64 v[102:103], v[38:39], -v[102:103]
	v_fma_f64 v[38:39], v[38:39], 2.0, -v[102:103]
	s_waitcnt vmcnt(0)
	v_mul_f64 v[96:97], v[94:95], v[160:161]
	v_fma_f64 v[96:97], v[92:93], v[158:159], -v[96:97]
	v_mul_f64 v[92:93], v[92:93], v[160:161]
	v_fmac_f64_e32 v[92:93], v[94:95], v[158:159]
	v_accvgpr_write_b32 a203, v161
	v_mul_lo_u16_e32 v94, 0x78, v157
	v_accvgpr_write_b32 a202, v160
	v_accvgpr_write_b32 a201, v159
	;; [unrolled: 1-line block ×3, first 2 shown]
	v_sub_u16_e32 v158, v124, v94
	v_lshlrev_b32_e32 v94, 4, v158
	global_load_dwordx4 v[160:163], v94, s[6:7] offset:1760
	v_lshrrev_b32_e32 v159, 18, v139
	v_add_f64 v[92:93], v[34:35], -v[92:93]
	v_fma_f64 v[34:35], v[34:35], 2.0, -v[92:93]
	s_waitcnt vmcnt(0)
	v_mul_f64 v[94:95], v[90:91], v[162:163]
	v_fma_f64 v[98:99], v[88:89], v[160:161], -v[94:95]
	v_mul_f64 v[94:95], v[88:89], v[162:163]
	v_mul_lo_u16_e32 v88, 0x78, v128
	v_sub_u16_e32 v129, v182, v88
	v_accvgpr_write_b32 a187, v163
	v_lshlrev_b32_e32 v88, 4, v129
	v_fmac_f64_e32 v[94:95], v[90:91], v[160:161]
	v_accvgpr_write_b32 a186, v162
	v_accvgpr_write_b32 a185, v161
	;; [unrolled: 1-line block ×3, first 2 shown]
	global_load_dwordx4 v[160:163], v88, s[6:7] offset:1760
	v_add_f64 v[90:91], v[32:33], -v[96:97]
	v_fma_f64 v[32:33], v[32:33], 2.0, -v[90:91]
	v_add_f64 v[96:97], v[28:29], -v[98:99]
	v_add_f64 v[98:99], v[30:31], -v[94:95]
	v_fma_f64 v[28:29], v[28:29], 2.0, -v[96:97]
	v_fma_f64 v[30:31], v[30:31], 2.0, -v[98:99]
	s_waitcnt vmcnt(0) lgkmcnt(12)
	v_mul_f64 v[88:89], v[86:87], v[162:163]
	v_fma_f64 v[88:89], v[84:85], v[160:161], -v[88:89]
	v_mul_f64 v[84:85], v[84:85], v[162:163]
	v_fmac_f64_e32 v[84:85], v[86:87], v[160:161]
	v_mul_lo_u16_e32 v86, 0x78, v159
	v_sub_u16_e32 v192, v177, v86
	v_accvgpr_write_b32 a183, v163
	v_lshlrev_b32_e32 v86, 4, v192
	v_accvgpr_write_b32 a182, v162
	v_accvgpr_write_b32 a181, v161
	;; [unrolled: 1-line block ×3, first 2 shown]
	global_load_dwordx4 v[162:165], v86, s[6:7] offset:1760
	v_add_f64 v[84:85], v[26:27], -v[84:85]
	v_fma_f64 v[26:27], v[26:27], 2.0, -v[84:85]
	s_waitcnt vmcnt(0) lgkmcnt(10)
	v_mul_f64 v[86:87], v[82:83], v[164:165]
	v_fma_f64 v[160:161], v[80:81], v[162:163], -v[86:87]
	v_mul_f64 v[86:87], v[80:81], v[164:165]
	v_mul_lo_u16_e32 v80, 0x78, v193
	v_sub_u16_e32 v194, v178, v80
	v_accvgpr_write_b32 a175, v165
	v_lshlrev_b32_e32 v80, 4, v194
	v_fmac_f64_e32 v[86:87], v[82:83], v[162:163]
	v_accvgpr_write_b32 a174, v164
	v_accvgpr_write_b32 a173, v163
	;; [unrolled: 1-line block ×3, first 2 shown]
	global_load_dwordx4 v[162:165], v80, s[6:7] offset:1760
	v_add_f64 v[82:83], v[24:25], -v[88:89]
	v_fma_f64 v[24:25], v[24:25], 2.0, -v[82:83]
	s_waitcnt vmcnt(0) lgkmcnt(8)
	v_mul_f64 v[80:81], v[78:79], v[164:165]
	v_fma_f64 v[80:81], v[76:77], v[162:163], -v[80:81]
	v_mul_f64 v[76:77], v[76:77], v[164:165]
	v_fmac_f64_e32 v[76:77], v[78:79], v[162:163]
	v_mul_lo_u16_e32 v78, 0x78, v195
	v_sub_u16_e32 v196, v181, v78
	v_accvgpr_write_b32 a171, v165
	v_lshlrev_b32_e32 v78, 4, v196
	v_accvgpr_write_b32 a170, v164
	v_accvgpr_write_b32 a169, v163
	;; [unrolled: 1-line block ×3, first 2 shown]
	global_load_dwordx4 v[164:167], v78, s[6:7] offset:1760
	s_waitcnt vmcnt(0) lgkmcnt(6)
	v_mul_f64 v[78:79], v[74:75], v[166:167]
	v_mov_b64_e32 v[168:169], v[166:167]
	v_fma_f64 v[162:163], v[72:73], v[164:165], -v[78:79]
	v_mov_b64_e32 v[166:167], v[164:165]
	v_mul_f64 v[164:165], v[72:73], v[168:169]
	v_mul_lo_u16_e32 v72, 0x78, v197
	v_sub_u16_e32 v198, v176, v72
	v_lshlrev_b32_e32 v72, 4, v198
	global_load_dwordx4 v[186:189], v72, s[6:7] offset:1760
	v_accvgpr_write_b32 a156, v166
	v_fmac_f64_e32 v[164:165], v[74:75], v[166:167]
	v_accvgpr_write_b32 a157, v167
	v_accvgpr_write_b32 a158, v168
	;; [unrolled: 1-line block ×3, first 2 shown]
	v_add_f64 v[78:79], v[16:17], -v[80:81]
	v_add_f64 v[80:81], v[18:19], -v[76:77]
	v_mov_b32_e32 v76, 0xf0
	v_cndmask_b32_e32 v76, 0, v76, vcc
	v_add_lshl_u32 v76, v120, v76, 4
	v_add_f64 v[74:75], v[46:47], -v[110:111]
	v_fma_f64 v[46:47], v[46:47], 2.0, -v[74:75]
	v_add_f64 v[110:111], v[42:43], -v[100:101]
	v_fma_f64 v[42:43], v[42:43], 2.0, -v[110:111]
	;; [unrolled: 2-line block ×4, first 2 shown]
	v_fma_f64 v[16:17], v[16:17], 2.0, -v[78:79]
	v_fma_f64 v[18:19], v[18:19], 2.0, -v[80:81]
	v_add_f64 v[86:87], v[12:13], -v[162:163]
	v_add_f64 v[88:89], v[14:15], -v[164:165]
	v_fma_f64 v[12:13], v[12:13], 2.0, -v[86:87]
	v_fma_f64 v[14:15], v[14:15], 2.0, -v[88:89]
	s_waitcnt vmcnt(0) lgkmcnt(4)
	v_mul_f64 v[72:73], v[70:71], v[188:189]
	v_fma_f64 v[166:167], v[68:69], v[186:187], -v[72:73]
	v_mul_f64 v[168:169], v[68:69], v[188:189]
	v_mul_lo_u16_e32 v68, 0x78, v199
	v_sub_u16_e32 v200, v179, v68
	v_lshlrev_b32_e32 v68, 4, v200
	v_fmac_f64_e32 v[168:169], v[70:71], v[186:187]
	global_load_dwordx4 v[70:73], v68, s[6:7] offset:1760
	v_accvgpr_write_b32 a152, v186
	v_accvgpr_write_b32 a153, v187
	;; [unrolled: 1-line block ×4, first 2 shown]
	s_waitcnt vmcnt(0) lgkmcnt(2)
	v_mul_f64 v[68:69], v[66:67], v[72:73]
	v_fma_f64 v[170:171], v[64:65], v[70:71], -v[68:69]
	v_mul_f64 v[186:187], v[64:65], v[72:73]
	v_mul_lo_u16_e32 v64, 0x78, v201
	v_sub_u16_e32 v202, v180, v64
	v_lshlrev_b32_e32 v64, 4, v202
	v_fmac_f64_e32 v[186:187], v[66:67], v[70:71]
	global_load_dwordx4 v[66:69], v64, s[6:7] offset:1760
	s_waitcnt lgkmcnt(0)
	s_barrier
	scratch_store_dword off, v76, off offset:744 ; 4-byte Folded Spill
	v_accvgpr_write_b32 a127, v73
	v_accvgpr_write_b32 a126, v72
	;; [unrolled: 1-line block ×4, first 2 shown]
	v_add_f64 v[70:71], v[50:51], -v[108:109]
	v_fma_f64 v[50:51], v[50:51], 2.0, -v[70:71]
	v_add_f64 v[72:73], v[44:45], -v[114:115]
	v_fma_f64 v[44:45], v[44:45], 2.0, -v[72:73]
	;; [unrolled: 2-line block ×5, first 2 shown]
	v_lshrrev_b32_e32 v169, 19, v137
	s_waitcnt vmcnt(1)
	v_mul_f64 v[64:65], v[62:63], v[68:69]
	v_mul_f64 v[190:191], v[60:61], v[68:69]
	v_fma_f64 v[188:189], v[60:61], v[66:67], -v[64:65]
	v_fmac_f64_e32 v[190:191], v[62:63], v[66:67]
	v_add_f64 v[60:61], v[56:57], -v[122:123]
	v_add_f64 v[62:63], v[58:59], -v[116:117]
	v_accvgpr_write_b32 a123, v69
	v_fma_f64 v[56:57], v[56:57], 2.0, -v[60:61]
	v_fma_f64 v[58:59], v[58:59], 2.0, -v[62:63]
	v_accvgpr_write_b32 a122, v68
	v_accvgpr_write_b32 a121, v67
	;; [unrolled: 1-line block ×3, first 2 shown]
	v_add_f64 v[64:65], v[52:53], -v[130:131]
	v_add_f64 v[66:67], v[54:55], -v[118:119]
	ds_write_b128 v76, v[56:59]
	ds_write_b128 v76, v[60:63] offset:1920
	v_mul_u32_u24_e32 v56, 0xf0, v121
	v_fma_f64 v[52:53], v[52:53], 2.0, -v[64:65]
	v_fma_f64 v[54:55], v[54:55], 2.0, -v[66:67]
	v_add_lshl_u32 v56, v56, v133, 4
	v_add_f64 v[68:69], v[48:49], -v[112:113]
	scratch_store_dword off, v56, off offset:708 ; 4-byte Folded Spill
	ds_write_b128 v56, v[52:55]
	ds_write_b128 v56, v[64:67] offset:1920
	v_mad_legacy_u16 v52, v145, s34, v148
	v_fma_f64 v[48:49], v[48:49], 2.0, -v[68:69]
	v_lshlrev_b32_e32 v52, 4, v52
	scratch_store_dword off, v52, off offset:644 ; 4-byte Folded Spill
	ds_write_b128 v52, v[48:51]
	ds_write_b128 v52, v[68:71] offset:1920
	v_mad_legacy_u16 v48, v149, s34, v150
	v_lshlrev_b32_e32 v48, 4, v48
	scratch_store_dword off, v48, off offset:640 ; 4-byte Folded Spill
	ds_write_b128 v48, v[44:47]
	ds_write_b128 v48, v[72:75] offset:1920
	v_mad_legacy_u16 v44, v151, s34, v152
	;; [unrolled: 5-line block ×9, first 2 shown]
	v_lshlrev_b32_e32 v16, 4, v16
	v_add_f64 v[112:113], v[8:9], -v[166:167]
	scratch_store_dword off, v16, off offset:632 ; 4-byte Folded Spill
	ds_write_b128 v16, v[12:15]
	ds_write_b128 v16, v[86:89] offset:1920
	v_mad_legacy_u16 v12, v197, s34, v198
	v_fma_f64 v[8:9], v[8:9], 2.0, -v[112:113]
	v_lshlrev_b32_e32 v12, 4, v12
	v_add_f64 v[116:117], v[4:5], -v[170:171]
	v_add_f64 v[118:119], v[6:7], -v[186:187]
	scratch_store_dword off, v12, off offset:624 ; 4-byte Folded Spill
	ds_write_b128 v12, v[8:11]
	ds_write_b128 v12, v[112:115] offset:1920
	v_mad_legacy_u16 v8, v199, s34, v200
	v_fma_f64 v[4:5], v[4:5], 2.0, -v[116:117]
	v_fma_f64 v[6:7], v[6:7], 2.0, -v[118:119]
	v_lshlrev_b32_e32 v8, 4, v8
	v_add_f64 v[160:161], v[0:1], -v[188:189]
	v_add_f64 v[162:163], v[2:3], -v[190:191]
	scratch_store_dword off, v8, off offset:620 ; 4-byte Folded Spill
	ds_write_b128 v8, v[4:7]
	ds_write_b128 v8, v[116:119] offset:1920
	v_mad_legacy_u16 v4, v201, s34, v202
	v_fma_f64 v[0:1], v[0:1], 2.0, -v[160:161]
	v_fma_f64 v[2:3], v[2:3], 2.0, -v[162:163]
	v_lshlrev_b32_e32 v4, 4, v4
	scratch_store_dword off, v4, off offset:616 ; 4-byte Folded Spill
	ds_write_b128 v4, v[0:3]
	ds_write_b128 v4, v[160:163] offset:1920
	s_waitcnt lgkmcnt(0)
	s_barrier
	ds_read_b128 v[56:59], v240
	ds_read_b128 v[116:119], v240 offset:30720
	ds_read_b128 v[52:55], v240 offset:2048
	;; [unrolled: 1-line block ×29, first 2 shown]
	global_load_dwordx4 v[148:151], v240, s[6:7] offset:3680
	s_movk_i32 s34, 0xff90
	s_mov_b32 s35, -1
	v_lshrrev_b32_e32 v128, 18, v141
	v_lshrrev_b32_e32 v171, 19, v135
	v_lshl_add_u64 v[120:121], s[6:7], 0, v[240:241]
	s_waitcnt vmcnt(0) lgkmcnt(14)
	v_mul_f64 v[122:123], v[118:119], v[150:151]
	v_fma_f64 v[130:131], v[116:117], v[148:149], -v[122:123]
	v_mul_f64 v[122:123], v[116:117], v[150:151]
	v_lshl_add_u64 v[116:117], v[232:233], 0, s[34:35]
	s_mov_b64 s[34:35], 0xf0
	v_cmp_gt_u64_e32 vcc, s[34:35], v[146:147]
	v_fmac_f64_e32 v[122:123], v[118:119], v[148:149]
	v_accvgpr_write_b32 a207, v151
	v_cndmask_b32_e32 v116, v116, v146, vcc
	v_cndmask_b32_e64 v117, v117, 0, vcc
	v_lshl_add_u64 v[118:119], v[116:117], 4, s[6:7]
	v_accvgpr_write_b32 a206, v150
	v_accvgpr_write_b32 a205, v149
	;; [unrolled: 1-line block ×3, first 2 shown]
	global_load_dwordx4 v[148:151], v[118:119], off offset:3680
	v_lshrrev_b32_e32 v117, 17, v132
	s_mov_b64 s[34:35], 0xef
	v_cmp_lt_u64_e32 vcc, s[34:35], v[146:147]
	s_movk_i32 s34, 0x1e0
	s_movk_i32 s35, 0x2000
	s_waitcnt vmcnt(0)
	v_mul_f64 v[118:119], v[114:115], v[150:151]
	v_fma_f64 v[118:119], v[112:113], v[148:149], -v[118:119]
	v_mul_f64 v[112:113], v[112:113], v[150:151]
	v_accvgpr_write_b32 a199, v151
	v_fmac_f64_e32 v[112:113], v[114:115], v[148:149]
	v_accvgpr_write_b32 a198, v150
	v_accvgpr_write_b32 a197, v149
	v_accvgpr_write_b32 a196, v148
	global_load_dwordx4 v[148:151], v240, s[6:7] offset:3936
	s_waitcnt vmcnt(0)
	v_mul_f64 v[114:115], v[110:111], v[150:151]
	v_fma_f64 v[114:115], v[108:109], v[148:149], -v[114:115]
	v_mul_f64 v[108:109], v[108:109], v[150:151]
	v_fmac_f64_e32 v[108:109], v[110:111], v[148:149]
	v_mul_lo_u16_e32 v110, 0xf0, v117
	v_sub_u16_e32 v145, v126, v110
	v_accvgpr_write_b32 a179, v151
	v_lshlrev_b32_e32 v110, 4, v145
	v_accvgpr_write_b32 a178, v150
	v_accvgpr_write_b32 a177, v149
	;; [unrolled: 1-line block ×3, first 2 shown]
	global_load_dwordx4 v[148:151], v110, s[6:7] offset:3680
	s_waitcnt vmcnt(0)
	v_mul_f64 v[110:111], v[106:107], v[150:151]
	v_fma_f64 v[132:133], v[104:105], v[148:149], -v[110:111]
	v_mul_f64 v[110:111], v[104:105], v[150:151]
	v_lshrrev_b32_e32 v104, 18, v142
	v_mul_lo_u16_e32 v104, 0xf0, v104
	v_sub_u16_e32 v104, v184, v104
	v_accvgpr_write_b32 a167, v151
	v_lshlrev_b32_e32 v184, 4, v104
	v_fmac_f64_e32 v[110:111], v[106:107], v[148:149]
	v_accvgpr_write_b32 a166, v150
	v_accvgpr_write_b32 a165, v149
	;; [unrolled: 1-line block ×3, first 2 shown]
	global_load_dwordx4 v[148:151], v184, s[6:7] offset:3680
	v_lshrrev_b32_e32 v142, 18, v143
	s_waitcnt vmcnt(0)
	v_mul_f64 v[104:105], v[102:103], v[150:151]
	v_fma_f64 v[104:105], v[100:101], v[148:149], -v[104:105]
	v_mul_f64 v[100:101], v[100:101], v[150:151]
	v_fmac_f64_e32 v[100:101], v[102:103], v[148:149]
	v_mul_lo_u16_e32 v102, 0xf0, v142
	v_sub_u16_e32 v143, v185, v102
	v_accvgpr_write_b32 a163, v151
	v_lshlrev_b32_e32 v102, 4, v143
	v_accvgpr_write_b32 a162, v150
	v_accvgpr_write_b32 a161, v149
	;; [unrolled: 1-line block ×3, first 2 shown]
	global_load_dwordx4 v[148:151], v102, s[6:7] offset:3680
	s_waitcnt vmcnt(0)
	v_mul_f64 v[102:103], v[98:99], v[150:151]
	v_fma_f64 v[106:107], v[96:97], v[148:149], -v[102:103]
	v_mul_f64 v[102:103], v[96:97], v[150:151]
	v_lshrrev_b32_e32 v96, 18, v144
	v_mul_lo_u16_e32 v96, 0xf0, v96
	v_sub_u16_e32 v96, v183, v96
	v_accvgpr_write_b32 a132, v148
	v_lshlrev_b32_e32 v185, 4, v96
	v_fmac_f64_e32 v[102:103], v[98:99], v[148:149]
	v_accvgpr_write_b32 a133, v149
	v_accvgpr_write_b32 a134, v150
	;; [unrolled: 1-line block ×3, first 2 shown]
	global_load_dwordx4 v[148:151], v185, s[6:7] offset:3680
	v_lshrrev_b32_e32 v144, 19, v139
	v_add_f64 v[102:103], v[38:39], -v[102:103]
	v_fma_f64 v[38:39], v[38:39], 2.0, -v[102:103]
	s_waitcnt vmcnt(0)
	v_mul_f64 v[96:97], v[94:95], v[150:151]
	v_fma_f64 v[96:97], v[92:93], v[148:149], -v[96:97]
	v_mul_f64 v[92:93], v[92:93], v[150:151]
	v_fmac_f64_e32 v[92:93], v[94:95], v[148:149]
	v_mul_lo_u16_e32 v94, 0xf0, v128
	v_sub_u16_e32 v129, v124, v94
	v_accvgpr_write_b32 a128, v148
	v_lshlrev_b32_e32 v94, 4, v129
	v_accvgpr_write_b32 a129, v149
	v_accvgpr_write_b32 a130, v150
	;; [unrolled: 1-line block ×3, first 2 shown]
	global_load_dwordx4 v[148:151], v94, s[6:7] offset:3680
	v_add_f64 v[92:93], v[34:35], -v[92:93]
	v_fma_f64 v[34:35], v[34:35], 2.0, -v[92:93]
	s_waitcnt vmcnt(0)
	v_mul_f64 v[94:95], v[90:91], v[150:151]
	v_fma_f64 v[98:99], v[88:89], v[148:149], -v[94:95]
	v_mul_f64 v[94:95], v[88:89], v[150:151]
	v_lshrrev_b32_e32 v88, 19, v140
	v_mul_lo_u16_e32 v88, 0xf0, v88
	v_sub_u16_e32 v88, v182, v88
	v_accvgpr_write_b32 a116, v148
	v_lshlrev_b32_e32 v186, 4, v88
	v_fmac_f64_e32 v[94:95], v[90:91], v[148:149]
	v_accvgpr_write_b32 a117, v149
	v_accvgpr_write_b32 a118, v150
	;; [unrolled: 1-line block ×3, first 2 shown]
	global_load_dwordx4 v[148:151], v186, s[6:7] offset:3680
	v_add_f64 v[90:91], v[32:33], -v[96:97]
	v_fma_f64 v[32:33], v[32:33], 2.0, -v[90:91]
	v_add_f64 v[96:97], v[28:29], -v[98:99]
	v_add_f64 v[98:99], v[30:31], -v[94:95]
	v_fma_f64 v[28:29], v[28:29], 2.0, -v[96:97]
	v_fma_f64 v[30:31], v[30:31], 2.0, -v[98:99]
	s_waitcnt vmcnt(0) lgkmcnt(12)
	v_mul_f64 v[88:89], v[86:87], v[150:151]
	v_fma_f64 v[88:89], v[84:85], v[148:149], -v[88:89]
	v_mul_f64 v[84:85], v[84:85], v[150:151]
	v_fmac_f64_e32 v[84:85], v[86:87], v[148:149]
	v_mul_lo_u16_e32 v86, 0xf0, v144
	v_sub_u16_e32 v168, v177, v86
	v_accvgpr_write_b32 a112, v148
	v_lshlrev_b32_e32 v86, 4, v168
	v_accvgpr_write_b32 a113, v149
	v_accvgpr_write_b32 a114, v150
	v_accvgpr_write_b32 a115, v151
	global_load_dwordx4 v[148:151], v86, s[6:7] offset:3680
	v_add_f64 v[84:85], v[26:27], -v[84:85]
	v_fma_f64 v[26:27], v[26:27], 2.0, -v[84:85]
	s_waitcnt vmcnt(0) lgkmcnt(10)
	v_mul_f64 v[86:87], v[82:83], v[150:151]
	v_mov_b64_e32 v[152:153], v[150:151]
	v_fma_f64 v[86:87], v[80:81], v[148:149], -v[86:87]
	v_mov_b64_e32 v[150:151], v[148:149]
	v_mul_f64 v[148:149], v[80:81], v[152:153]
	v_lshrrev_b32_e32 v80, 19, v138
	v_mul_lo_u16_e32 v80, 0xf0, v80
	v_sub_u16_e32 v80, v178, v80
	v_accvgpr_write_b32 a104, v150
	v_lshlrev_b32_e32 v187, 4, v80
	v_accvgpr_write_b32 a105, v151
	v_accvgpr_write_b32 a106, v152
	;; [unrolled: 1-line block ×3, first 2 shown]
	global_load_dwordx4 v[152:155], v187, s[6:7] offset:3680
	v_fmac_f64_e32 v[148:149], v[82:83], v[150:151]
	v_add_f64 v[86:87], v[20:21], -v[86:87]
	v_fma_f64 v[20:21], v[20:21], 2.0, -v[86:87]
	s_waitcnt vmcnt(0) lgkmcnt(8)
	v_mul_f64 v[80:81], v[78:79], v[154:155]
	v_fma_f64 v[150:151], v[76:77], v[152:153], -v[80:81]
	v_mul_f64 v[76:77], v[76:77], v[154:155]
	v_fmac_f64_e32 v[76:77], v[78:79], v[152:153]
	v_mul_lo_u16_e32 v78, 0xf0, v169
	v_sub_u16_e32 v170, v181, v78
	v_lshlrev_b32_e32 v78, 4, v170
	global_load_dwordx4 v[80:83], v78, s[6:7] offset:3680
	v_accvgpr_write_b32 a100, v152
	v_accvgpr_write_b32 a101, v153
	;; [unrolled: 1-line block ×4, first 2 shown]
	s_waitcnt vmcnt(0) lgkmcnt(6)
	v_mul_f64 v[78:79], v[74:75], v[82:83]
	v_fma_f64 v[152:153], v[72:73], v[80:81], -v[78:79]
	v_mul_f64 v[154:155], v[72:73], v[82:83]
	v_lshrrev_b32_e32 v72, 19, v136
	v_mul_lo_u16_e32 v72, 0xf0, v72
	v_sub_u16_e32 v72, v176, v72
	v_accvgpr_write_b32 a95, v83
	v_lshlrev_b32_e32 v188, 4, v72
	v_fmac_f64_e32 v[154:155], v[74:75], v[80:81]
	v_accvgpr_write_b32 a94, v82
	v_accvgpr_write_b32 a93, v81
	;; [unrolled: 1-line block ×3, first 2 shown]
	global_load_dwordx4 v[78:81], v188, s[6:7] offset:3680
	v_add_f64 v[74:75], v[46:47], -v[110:111]
	v_fma_f64 v[46:47], v[46:47], 2.0, -v[74:75]
	v_add_f64 v[82:83], v[24:25], -v[88:89]
	v_fma_f64 v[24:25], v[24:25], 2.0, -v[82:83]
	;; [unrolled: 2-line block ×4, first 2 shown]
	s_waitcnt vmcnt(0) lgkmcnt(4)
	v_mul_f64 v[72:73], v[70:71], v[80:81]
	v_fma_f64 v[156:157], v[68:69], v[78:79], -v[72:73]
	v_mul_f64 v[158:159], v[68:69], v[80:81]
	v_mul_lo_u16_e32 v68, 0xf0, v171
	v_sub_u16_e32 v183, v179, v68
	v_lshlrev_b32_e32 v68, 4, v183
	v_fmac_f64_e32 v[158:159], v[70:71], v[78:79]
	global_load_dwordx4 v[70:73], v68, s[6:7] offset:3680
	v_accvgpr_write_b32 a87, v81
	v_accvgpr_write_b32 a86, v80
	;; [unrolled: 1-line block ×4, first 2 shown]
	v_add_f64 v[78:79], v[40:41], -v[104:105]
	v_add_f64 v[80:81], v[42:43], -v[100:101]
	v_fma_f64 v[40:41], v[40:41], 2.0, -v[78:79]
	v_fma_f64 v[42:43], v[42:43], 2.0, -v[80:81]
	v_add_f64 v[100:101], v[36:37], -v[106:107]
	v_fma_f64 v[36:37], v[36:37], 2.0, -v[100:101]
	v_add_f64 v[104:105], v[16:17], -v[150:151]
	v_add_f64 v[106:107], v[18:19], -v[76:77]
	v_fma_f64 v[16:17], v[16:17], 2.0, -v[104:105]
	v_fma_f64 v[18:19], v[18:19], 2.0, -v[106:107]
	s_waitcnt vmcnt(0) lgkmcnt(2)
	v_mul_f64 v[68:69], v[66:67], v[72:73]
	v_fma_f64 v[160:161], v[64:65], v[70:71], -v[68:69]
	v_mul_f64 v[162:163], v[64:65], v[72:73]
	v_lshrrev_b32_e32 v64, 19, v134
	v_mul_lo_u16_e32 v64, 0xf0, v64
	v_sub_u16_e32 v64, v180, v64
	v_lshlrev_b32_e32 v241, 4, v64
	v_fmac_f64_e32 v[162:163], v[66:67], v[70:71]
	global_load_dwordx4 v[66:69], v241, s[6:7] offset:3680
	s_waitcnt lgkmcnt(0)
	s_barrier
	v_accvgpr_write_b32 a83, v73
	v_accvgpr_write_b32 a82, v72
	;; [unrolled: 1-line block ×4, first 2 shown]
	v_add_f64 v[70:71], v[50:51], -v[108:109]
	v_fma_f64 v[50:51], v[50:51], 2.0, -v[70:71]
	v_add_f64 v[72:73], v[44:45], -v[132:133]
	v_fma_f64 v[44:45], v[44:45], 2.0, -v[72:73]
	;; [unrolled: 2-line block ×4, first 2 shown]
	s_waitcnt vmcnt(0)
	v_mul_f64 v[64:65], v[62:63], v[68:69]
	v_mul_f64 v[166:167], v[60:61], v[68:69]
	v_fma_f64 v[164:165], v[60:61], v[66:67], -v[64:65]
	v_fmac_f64_e32 v[166:167], v[62:63], v[66:67]
	v_add_f64 v[60:61], v[56:57], -v[130:131]
	v_add_f64 v[62:63], v[58:59], -v[122:123]
	v_fma_f64 v[56:57], v[56:57], 2.0, -v[60:61]
	v_fma_f64 v[58:59], v[58:59], 2.0, -v[62:63]
	v_accvgpr_write_b32 a79, v69
	ds_write_b128 v240, v[56:59]
	ds_write_b128 v240, v[60:63] offset:3840
	v_mov_b32_e32 v56, 0x1e0
	v_accvgpr_write_b32 a78, v68
	v_accvgpr_write_b32 a77, v67
	;; [unrolled: 1-line block ×3, first 2 shown]
	v_add_f64 v[64:65], v[52:53], -v[118:119]
	v_add_f64 v[66:67], v[54:55], -v[112:113]
	;; [unrolled: 1-line block ×3, first 2 shown]
	v_cndmask_b32_e32 v56, 0, v56, vcc
	v_fma_f64 v[52:53], v[52:53], 2.0, -v[64:65]
	v_fma_f64 v[54:55], v[54:55], 2.0, -v[66:67]
	;; [unrolled: 1-line block ×3, first 2 shown]
	v_add_lshl_u32 v56, v56, v116, 4
	scratch_store_dword off, v56, off offset:908 ; 4-byte Folded Spill
	ds_write_b128 v56, v[52:55]
	ds_write_b128 v56, v[64:67] offset:3840
	ds_write_b128 v240, v[48:51] offset:7936
	;; [unrolled: 1-line block ×3, first 2 shown]
	v_mad_legacy_u16 v48, v117, s34, v145
	v_lshlrev_b32_e32 v48, 4, v48
	scratch_store_dword off, v48, off offset:904 ; 4-byte Folded Spill
	ds_write_b128 v48, v[44:47]
	ds_write_b128 v48, v[72:75] offset:3840
	scratch_store_dword off, v184, off offset:900 ; 4-byte Folded Spill
	ds_write_b128 v184, v[40:43] offset:15360
	ds_write_b128 v184, v[78:81] offset:19200
	v_mad_legacy_u16 v40, v142, s34, v143
	v_lshlrev_b32_e32 v40, 4, v40
	scratch_store_dword off, v40, off offset:896 ; 4-byte Folded Spill
	ds_write_b128 v40, v[36:39]
	ds_write_b128 v40, v[100:103] offset:3840
	scratch_store_dword off, v185, off offset:796 ; 4-byte Folded Spill
	ds_write_b128 v185, v[32:35] offset:23040
	ds_write_b128 v185, v[90:93] offset:26880
	;; [unrolled: 8-line block ×3, first 2 shown]
	v_mad_legacy_u16 v24, v144, s34, v168
	v_lshlrev_b32_e32 v24, 4, v24
	v_add_f64 v[112:113], v[8:9], -v[156:157]
	v_add_f64 v[114:115], v[10:11], -v[158:159]
	scratch_store_dword off, v24, off offset:752 ; 4-byte Folded Spill
	ds_write_b128 v24, v[20:23]
	ds_write_b128 v24, v[86:89] offset:3840
	scratch_store_dword off, v187, off offset:700 ; 4-byte Folded Spill
	ds_write_b128 v187, v[16:19] offset:38400
	ds_write_b128 v187, v[104:107] offset:42240
	v_mad_legacy_u16 v16, v169, s34, v170
	v_fma_f64 v[8:9], v[8:9], 2.0, -v[112:113]
	v_fma_f64 v[10:11], v[10:11], 2.0, -v[114:115]
	v_lshlrev_b32_e32 v16, 4, v16
	v_add_f64 v[130:131], v[4:5], -v[160:161]
	scratch_store_dword off, v16, off offset:696 ; 4-byte Folded Spill
	ds_write_b128 v16, v[12:15]
	ds_write_b128 v16, v[108:111] offset:3840
	scratch_store_dword off, v188, off offset:692 ; 4-byte Folded Spill
	ds_write_b128 v188, v[8:11] offset:46080
	ds_write_b128 v188, v[112:115] offset:49920
	v_mad_legacy_u16 v8, v171, s34, v183
	v_fma_f64 v[4:5], v[4:5], 2.0, -v[130:131]
	v_add_f64 v[148:149], v[0:1], -v[164:165]
	v_add_f64 v[150:151], v[2:3], -v[166:167]
	v_lshlrev_b32_e32 v8, 4, v8
	s_movk_i32 s34, 0x1000
	v_fma_f64 v[0:1], v[0:1], 2.0, -v[148:149]
	v_fma_f64 v[2:3], v[2:3], 2.0, -v[150:151]
	scratch_store_dword off, v8, off offset:748 ; 4-byte Folded Spill
	ds_write_b128 v8, v[4:7]
	ds_write_b128 v8, v[130:133] offset:3840
	ds_write_b128 v241, v[0:3] offset:53760
	;; [unrolled: 1-line block ×3, first 2 shown]
	v_add_co_u32_e32 v132, vcc, s34, v120
	s_waitcnt lgkmcnt(0)
	s_nop 0
	v_addc_co_u32_e32 v133, vcc, 0, v121, vcc
	s_barrier
	ds_read_b128 v[56:59], v240
	ds_read_b128 v[116:119], v240 offset:30720
	ds_read_b128 v[52:55], v240 offset:2048
	;; [unrolled: 1-line block ×29, first 2 shown]
	global_load_dwordx4 v[142:145], v[132:133], off offset:3424
	v_mov_b32_e32 v129, v233
	s_waitcnt vmcnt(0) lgkmcnt(14)
	v_mul_f64 v[122:123], v[118:119], v[144:145]
	v_fma_f64 v[130:131], v[116:117], v[142:143], -v[122:123]
	v_mul_f64 v[122:123], v[116:117], v[144:145]
	v_accvgpr_write_b32 a151, v145
	v_fmac_f64_e32 v[122:123], v[118:119], v[142:143]
	v_accvgpr_write_b32 a150, v144
	v_accvgpr_write_b32 a149, v143
	;; [unrolled: 1-line block ×3, first 2 shown]
	v_add_co_u32_e32 v142, vcc, s35, v120
	s_nop 1
	v_addc_co_u32_e32 v143, vcc, 0, v121, vcc
	global_load_dwordx4 v[144:147], v[142:143], off offset:1376
	s_waitcnt vmcnt(0)
	v_mul_f64 v[116:117], v[114:115], v[146:147]
	v_fma_f64 v[118:119], v[112:113], v[144:145], -v[116:117]
	v_mul_f64 v[116:117], v[112:113], v[146:147]
	v_accvgpr_write_b32 a140, v144
	v_fmac_f64_e32 v[116:117], v[114:115], v[144:145]
	v_accvgpr_write_b32 a141, v145
	v_accvgpr_write_b32 a142, v146
	v_accvgpr_write_b32 a143, v147
	global_load_dwordx4 v[144:147], v[142:143], off offset:3424
	s_waitcnt vmcnt(0)
	v_mul_f64 v[112:113], v[110:111], v[146:147]
	v_fma_f64 v[114:115], v[108:109], v[144:145], -v[112:113]
	v_mul_f64 v[112:113], v[108:109], v[146:147]
	v_lshl_add_u64 v[108:109], v[232:233], 0, s[36:37]
	s_mov_b64 s[36:37], 0x1e0
	v_cmp_gt_u64_e32 vcc, s[36:37], v[126:127]
	v_fmac_f64_e32 v[112:113], v[110:111], v[144:145]
	v_accvgpr_write_b32 a144, v144
	v_cndmask_b32_e32 v108, v108, v126, vcc
	v_cndmask_b32_e64 v109, v109, 0, vcc
	v_lshl_add_u64 v[110:111], v[108:109], 4, s[6:7]
	v_add_co_u32_e32 v110, vcc, s34, v110
	v_accvgpr_write_b32 a145, v145
	s_nop 0
	v_addc_co_u32_e32 v111, vcc, 0, v111, vcc
	v_accvgpr_write_b32 a146, v146
	v_accvgpr_write_b32 a147, v147
	global_load_dwordx4 v[144:147], v[110:111], off offset:3424
	v_lshrrev_b32_e32 v109, 19, v141
	s_movk_i32 s36, 0x3000
	s_waitcnt vmcnt(0)
	v_mul_f64 v[110:111], v[106:107], v[146:147]
	v_fma_f64 v[110:111], v[104:105], v[144:145], -v[110:111]
	v_mul_f64 v[104:105], v[104:105], v[146:147]
	v_accvgpr_write_b32 a136, v144
	v_fmac_f64_e32 v[104:105], v[106:107], v[144:145]
	v_accvgpr_write_b32 a137, v145
	v_accvgpr_write_b32 a138, v146
	v_accvgpr_write_b32 a139, v147
	global_load_dwordx4 v[144:147], v[132:133], off offset:3936
	s_waitcnt vmcnt(0)
	v_mul_f64 v[106:107], v[102:103], v[146:147]
	v_fma_f64 v[106:107], v[100:101], v[144:145], -v[106:107]
	v_mul_f64 v[100:101], v[100:101], v[146:147]
	v_accvgpr_write_b32 a108, v144
	v_fmac_f64_e32 v[100:101], v[102:103], v[144:145]
	v_accvgpr_write_b32 a109, v145
	v_accvgpr_write_b32 a110, v146
	v_accvgpr_write_b32 a111, v147
	global_load_dwordx4 v[144:147], v[142:143], off offset:1888
	;; [unrolled: 10-line block ×3, first 2 shown]
	s_waitcnt vmcnt(0)
	v_mul_f64 v[98:99], v[94:95], v[144:145]
	v_fma_f64 v[98:99], v[92:93], v[142:143], -v[98:99]
	v_mul_f64 v[92:93], v[92:93], v[144:145]
	v_fmac_f64_e32 v[92:93], v[94:95], v[142:143]
	v_mul_lo_u16_e32 v94, 0x1e0, v109
	v_sub_u16_e32 v132, v124, v94
	v_lshlrev_b32_e32 v94, 4, v132
	v_mov_b32_e32 v95, v233
	v_lshl_add_u64 v[94:95], s[6:7], 0, v[94:95]
	v_add_co_u32_e32 v94, vcc, s34, v94
	v_accvgpr_write_b32 a88, v142
	s_nop 0
	v_addc_co_u32_e32 v95, vcc, 0, v95, vcc
	v_accvgpr_write_b32 a89, v143
	v_accvgpr_write_b32 a90, v144
	;; [unrolled: 1-line block ×3, first 2 shown]
	global_load_dwordx4 v[142:145], v[94:95], off offset:3424
	s_waitcnt vmcnt(0)
	v_mul_f64 v[94:95], v[90:91], v[144:145]
	v_fma_f64 v[94:95], v[88:89], v[142:143], -v[94:95]
	v_mul_f64 v[88:89], v[88:89], v[144:145]
	v_fmac_f64_e32 v[88:89], v[90:91], v[142:143]
	v_lshrrev_b32_e32 v90, 20, v140
	v_mul_lo_u16_e32 v90, 0x1e0, v90
	v_sub_u16_e32 v90, v182, v90
	v_lshlrev_b32_e32 v128, 4, v90
	v_lshl_add_u64 v[90:91], s[6:7], 0, v[128:129]
	v_add_co_u32_e32 v90, vcc, s34, v90
	v_accvgpr_write_b32 a60, v142
	s_nop 0
	v_addc_co_u32_e32 v91, vcc, 0, v91, vcc
	v_accvgpr_write_b32 a61, v143
	v_accvgpr_write_b32 a62, v144
	;; [unrolled: 1-line block ×3, first 2 shown]
	global_load_dwordx4 v[140:143], v[90:91], off offset:3424
	v_mov_b32_e32 v152, v128
	v_accvgpr_write_b32 a34, v152
	s_waitcnt vmcnt(0) lgkmcnt(12)
	v_mul_f64 v[90:91], v[86:87], v[142:143]
	v_fma_f64 v[90:91], v[84:85], v[140:141], -v[90:91]
	v_mul_f64 v[84:85], v[84:85], v[142:143]
	v_fmac_f64_e32 v[84:85], v[86:87], v[140:141]
	v_lshrrev_b32_e32 v86, 20, v139
	v_mul_lo_u16_e32 v86, 0x1e0, v86
	v_sub_u16_e32 v86, v177, v86
	v_lshlrev_b32_e32 v128, 4, v86
	v_lshl_add_u64 v[86:87], s[6:7], 0, v[128:129]
	v_add_co_u32_e32 v86, vcc, s34, v86
	v_accvgpr_write_b32 a56, v140
	s_nop 0
	v_addc_co_u32_e32 v87, vcc, 0, v87, vcc
	v_accvgpr_write_b32 a57, v141
	v_accvgpr_write_b32 a58, v142
	;; [unrolled: 1-line block ×3, first 2 shown]
	global_load_dwordx4 v[140:143], v[86:87], off offset:3424
	v_mov_b32_e32 v154, v128
	v_accvgpr_write_b32 a66, v154
	s_waitcnt vmcnt(0) lgkmcnt(10)
	v_mul_f64 v[86:87], v[82:83], v[142:143]
	v_fma_f64 v[86:87], v[80:81], v[140:141], -v[86:87]
	v_mul_f64 v[80:81], v[80:81], v[142:143]
	v_fmac_f64_e32 v[80:81], v[82:83], v[140:141]
	v_lshrrev_b32_e32 v82, 20, v138
	v_mul_lo_u16_e32 v82, 0x1e0, v82
	v_sub_u16_e32 v82, v178, v82
	v_lshlrev_b32_e32 v128, 4, v82
	v_lshl_add_u64 v[82:83], s[6:7], 0, v[128:129]
	v_add_co_u32_e32 v82, vcc, s34, v82
	v_accvgpr_write_b32 a20, v140
	s_nop 0
	v_addc_co_u32_e32 v83, vcc, 0, v83, vcc
	v_accvgpr_write_b32 a21, v141
	v_accvgpr_write_b32 a22, v142
	;; [unrolled: 1-line block ×3, first 2 shown]
	global_load_dwordx4 v[138:141], v[82:83], off offset:3424
	v_mov_b32_e32 v156, v128
	v_lshrrev_b32_e32 v128, 20, v137
	v_add_f64 v[80:81], v[22:23], -v[80:81]
	v_fma_f64 v[22:23], v[22:23], 2.0, -v[80:81]
	v_accvgpr_write_b32 a68, v156
	s_waitcnt vmcnt(0) lgkmcnt(8)
	v_mul_f64 v[82:83], v[78:79], v[140:141]
	v_fma_f64 v[82:83], v[76:77], v[138:139], -v[82:83]
	v_mul_f64 v[76:77], v[76:77], v[140:141]
	v_fmac_f64_e32 v[76:77], v[78:79], v[138:139]
	v_mul_lo_u16_e32 v78, 0x1e0, v128
	v_sub_u16_e32 v129, v181, v78
	v_lshlrev_b32_e32 v78, 4, v129
	v_mov_b32_e32 v79, v233
	v_lshl_add_u64 v[78:79], s[6:7], 0, v[78:79]
	v_add_co_u32_e32 v78, vcc, s34, v78
	v_accvgpr_write_b32 a16, v138
	s_nop 0
	v_addc_co_u32_e32 v79, vcc, 0, v79, vcc
	global_load_dwordx4 v[142:145], v[78:79], off offset:3424
	v_accvgpr_write_b32 a17, v139
	v_accvgpr_write_b32 a18, v140
	;; [unrolled: 1-line block ×3, first 2 shown]
	v_add_f64 v[82:83], v[16:17], -v[82:83]
	v_fma_f64 v[16:17], v[16:17], 2.0, -v[82:83]
	s_waitcnt vmcnt(0) lgkmcnt(6)
	v_mul_f64 v[78:79], v[74:75], v[144:145]
	v_fma_f64 v[138:139], v[72:73], v[142:143], -v[78:79]
	v_mul_f64 v[140:141], v[72:73], v[144:145]
	v_lshrrev_b32_e32 v72, 20, v136
	v_mul_lo_u16_e32 v72, 0x1e0, v72
	v_sub_u16_e32 v72, v176, v72
	v_fmac_f64_e32 v[140:141], v[74:75], v[142:143]
	v_lshlrev_b32_e32 v74, 4, v72
	v_mov_b32_e32 v75, v233
	v_lshl_add_u64 v[72:73], s[6:7], 0, v[74:75]
	v_add_co_u32_e32 v72, vcc, s34, v72
	v_accvgpr_write_b32 a12, v142
	s_nop 0
	v_addc_co_u32_e32 v73, vcc, 0, v73, vcc
	v_accvgpr_write_b32 a13, v143
	v_accvgpr_write_b32 a14, v144
	;; [unrolled: 1-line block ×3, first 2 shown]
	global_load_dwordx4 v[144:147], v[72:73], off offset:3424
	v_mov_b32_e32 v158, v74
	v_add_f64 v[74:75], v[46:47], -v[104:105]
	v_add_f64 v[104:105], v[40:41], -v[106:107]
	;; [unrolled: 1-line block ×6, first 2 shown]
	v_fma_f64 v[46:47], v[46:47], 2.0, -v[74:75]
	v_fma_f64 v[40:41], v[40:41], 2.0, -v[104:105]
	;; [unrolled: 1-line block ×3, first 2 shown]
	v_add_f64 v[98:99], v[34:35], -v[92:93]
	v_fma_f64 v[32:33], v[32:33], 2.0, -v[96:97]
	v_fma_f64 v[36:37], v[36:37], 2.0, -v[100:101]
	v_fma_f64 v[38:39], v[38:39], 2.0, -v[102:103]
	v_fma_f64 v[34:35], v[34:35], 2.0, -v[98:99]
	v_add_f64 v[92:93], v[28:29], -v[94:95]
	v_add_f64 v[94:95], v[30:31], -v[88:89]
	v_add_f64 v[88:89], v[24:25], -v[90:91]
	v_add_f64 v[90:91], v[26:27], -v[84:85]
	v_add_f64 v[78:79], v[20:21], -v[86:87]
	v_add_f64 v[84:85], v[18:19], -v[76:77]
	v_fma_f64 v[28:29], v[28:29], 2.0, -v[92:93]
	v_fma_f64 v[30:31], v[30:31], 2.0, -v[94:95]
	;; [unrolled: 1-line block ×6, first 2 shown]
	v_accvgpr_write_b32 a28, v158
	s_waitcnt vmcnt(0) lgkmcnt(4)
	v_mul_f64 v[72:73], v[70:71], v[146:147]
	v_fma_f64 v[136:137], v[68:69], v[144:145], -v[72:73]
	v_mul_f64 v[142:143], v[68:69], v[146:147]
	v_lshrrev_b32_e32 v68, 20, v135
	v_mul_lo_u16_e32 v68, 0x1e0, v68
	v_sub_u16_e32 v68, v179, v68
	v_fmac_f64_e32 v[142:143], v[70:71], v[144:145]
	v_lshlrev_b32_e32 v70, 4, v68
	v_mov_b32_e32 v71, v233
	v_lshl_add_u64 v[68:69], s[6:7], 0, v[70:71]
	v_add_co_u32_e32 v68, vcc, s34, v68
	v_mov_b32_e32 v160, v70
	s_nop 0
	v_addc_co_u32_e32 v69, vcc, 0, v69, vcc
	global_load_dwordx4 v[70:73], v[68:69], off offset:3424
	v_accvgpr_write_b32 a8, v144
	v_accvgpr_write_b32 a9, v145
	v_accvgpr_write_b32 a10, v146
	v_accvgpr_write_b32 a11, v147
	v_accvgpr_write_b32 a64, v160
	s_waitcnt vmcnt(0) lgkmcnt(2)
	v_mul_f64 v[68:69], v[66:67], v[72:73]
	v_fma_f64 v[144:145], v[64:65], v[70:71], -v[68:69]
	v_mul_f64 v[146:147], v[64:65], v[72:73]
	v_lshrrev_b32_e32 v64, 20, v134
	v_mul_lo_u16_e32 v64, 0x1e0, v64
	v_sub_u16_e32 v64, v180, v64
	v_fmac_f64_e32 v[146:147], v[66:67], v[70:71]
	v_lshlrev_b32_e32 v66, 4, v64
	v_mov_b32_e32 v67, v233
	v_lshl_add_u64 v[64:65], s[6:7], 0, v[66:67]
	v_add_co_u32_e32 v64, vcc, s34, v64
	v_mov_b32_e32 v162, v66
	s_nop 0
	v_addc_co_u32_e32 v65, vcc, 0, v65, vcc
	global_load_dwordx4 v[66:69], v[64:65], off offset:3424
	v_accvgpr_write_b32 a4, v70
	v_accvgpr_write_b32 a5, v71
	v_accvgpr_write_b32 a6, v72
	v_accvgpr_write_b32 a7, v73
	v_add_f64 v[70:71], v[50:51], -v[112:113]
	s_mov_b64 s[34:35], 0x1df
	v_fma_f64 v[50:51], v[50:51], 2.0, -v[70:71]
	s_waitcnt lgkmcnt(0)
	s_barrier
	v_cmp_lt_u64_e32 vcc, s[34:35], v[126:127]
	v_add_f64 v[72:73], v[44:45], -v[110:111]
	v_fma_f64 v[44:45], v[44:45], 2.0, -v[72:73]
	s_movk_i32 s34, 0x3c0
	v_add_f64 v[110:111], v[12:13], -v[138:139]
	v_add_f64 v[112:113], v[14:15], -v[140:141]
	;; [unrolled: 1-line block ×3, first 2 shown]
	v_fma_f64 v[12:13], v[12:13], 2.0, -v[110:111]
	v_fma_f64 v[14:15], v[14:15], 2.0, -v[112:113]
	;; [unrolled: 1-line block ×3, first 2 shown]
	v_accvgpr_write_b32 a70, v162
	s_waitcnt vmcnt(0)
	v_mul_f64 v[64:65], v[62:63], v[68:69]
	v_mul_f64 v[150:151], v[60:61], v[68:69]
	v_accvgpr_write_b32 a0, v66
	v_fma_f64 v[148:149], v[60:61], v[66:67], -v[64:65]
	v_fmac_f64_e32 v[150:151], v[62:63], v[66:67]
	v_accvgpr_write_b32 a1, v67
	v_accvgpr_write_b32 a2, v68
	;; [unrolled: 1-line block ×3, first 2 shown]
	v_add_f64 v[60:61], v[56:57], -v[130:131]
	v_add_f64 v[62:63], v[58:59], -v[122:123]
	;; [unrolled: 1-line block ×3, first 2 shown]
	v_fma_f64 v[56:57], v[56:57], 2.0, -v[60:61]
	v_fma_f64 v[58:59], v[58:59], 2.0, -v[62:63]
	v_add_f64 v[64:65], v[52:53], -v[118:119]
	v_add_f64 v[66:67], v[54:55], -v[116:117]
	v_fma_f64 v[48:49], v[48:49], 2.0, -v[68:69]
	v_fma_f64 v[52:53], v[52:53], 2.0, -v[64:65]
	;; [unrolled: 1-line block ×3, first 2 shown]
	ds_write_b128 v240, v[56:59]
	ds_write_b128 v240, v[60:63] offset:7680
	ds_write_b128 v240, v[52:55] offset:2048
	;; [unrolled: 1-line block ×5, first 2 shown]
	v_mov_b32_e32 v48, 0x3c0
	v_cndmask_b32_e32 v48, 0, v48, vcc
	v_add_lshl_u32 v48, v48, v108, 4
	ds_write_b128 v48, v[44:47]
	ds_write_b128 v48, v[72:75] offset:7680
	ds_write_b128 v240, v[40:43] offset:15872
	;; [unrolled: 1-line block ×7, first 2 shown]
	v_mad_legacy_u16 v32, v109, s34, v132
	v_lshlrev_b32_e32 v32, 4, v32
	v_add_f64 v[114:115], v[8:9], -v[136:137]
	v_add_f64 v[116:117], v[10:11], -v[142:143]
	;; [unrolled: 1-line block ×3, first 2 shown]
	ds_write_b128 v32, v[28:31]
	ds_write_b128 v32, v[92:95] offset:7680
	ds_write_b128 v152, v[24:27] offset:30720
	;; [unrolled: 1-line block ×7, first 2 shown]
	v_mad_legacy_u16 v16, v128, s34, v129
	v_fma_f64 v[8:9], v[8:9], 2.0, -v[114:115]
	v_fma_f64 v[10:11], v[10:11], 2.0, -v[116:117]
	;; [unrolled: 1-line block ×3, first 2 shown]
	v_lshlrev_b32_e32 v16, 4, v16
	v_add_f64 v[138:139], v[0:1], -v[148:149]
	v_add_f64 v[140:141], v[2:3], -v[150:151]
	ds_write_b128 v16, v[12:15]
	ds_write_b128 v16, v[110:113] offset:7680
	ds_write_b128 v158, v[8:11] offset:46080
	;; [unrolled: 1-line block ×5, first 2 shown]
	v_add_co_u32_e32 v134, vcc, s36, v120
	v_fma_f64 v[0:1], v[0:1], 2.0, -v[138:139]
	v_fma_f64 v[2:3], v[2:3], 2.0, -v[140:141]
	v_addc_co_u32_e32 v135, vcc, 0, v121, vcc
	v_accvgpr_write_b32 a65, v48
	v_accvgpr_write_b32 a35, v32
	;; [unrolled: 1-line block ×3, first 2 shown]
	ds_write_b128 v162, v[0:3] offset:46080
	ds_write_b128 v162, v[138:141] offset:53760
	s_waitcnt lgkmcnt(0)
	s_barrier
	ds_read_b128 v[56:59], v240
	ds_read_b128 v[116:119], v240 offset:30720
	ds_read_b128 v[52:55], v240 offset:2048
	;; [unrolled: 1-line block ×29, first 2 shown]
	global_load_dwordx4 v[128:131], v[134:135], off offset:2912
	s_movk_i32 s34, 0x4000
	v_add_co_u32_e32 v136, vcc, s34, v120
	s_movk_i32 s34, 0x5000
	s_nop 0
	v_addc_co_u32_e32 v137, vcc, 0, v121, vcc
	v_add_co_u32_e32 v132, vcc, s34, v120
	s_movk_i32 s34, 0x6000
	s_nop 0
	v_addc_co_u32_e32 v133, vcc, 0, v121, vcc
	global_load_dwordx4 v[224:227], v[132:133], off offset:3936
	global_load_dwordx4 v[250:253], v[134:135], off offset:3936
	;; [unrolled: 1-line block ×5, first 2 shown]
	s_waitcnt vmcnt(5) lgkmcnt(14)
	v_mul_f64 v[122:123], v[118:119], v[130:131]
	v_fma_f64 v[126:127], v[116:117], v[128:129], -v[122:123]
	v_mul_f64 v[122:123], v[116:117], v[130:131]
	v_accvgpr_write_b32 a52, v128
	v_fmac_f64_e32 v[122:123], v[118:119], v[128:129]
	v_accvgpr_write_b32 a53, v129
	v_accvgpr_write_b32 a54, v130
	;; [unrolled: 1-line block ×3, first 2 shown]
	global_load_dwordx4 v[128:131], v[136:137], off offset:864
	s_waitcnt vmcnt(0)
	v_mul_f64 v[116:117], v[114:115], v[130:131]
	v_fma_f64 v[118:119], v[112:113], v[128:129], -v[116:117]
	v_mul_f64 v[116:117], v[112:113], v[130:131]
	v_accvgpr_write_b32 a48, v128
	v_fmac_f64_e32 v[116:117], v[114:115], v[128:129]
	v_accvgpr_write_b32 a49, v129
	v_accvgpr_write_b32 a50, v130
	v_accvgpr_write_b32 a51, v131
	global_load_dwordx4 v[128:131], v[136:137], off offset:2912
	s_waitcnt vmcnt(0)
	v_mul_f64 v[112:113], v[110:111], v[130:131]
	v_fma_f64 v[114:115], v[108:109], v[128:129], -v[112:113]
	v_mul_f64 v[112:113], v[108:109], v[130:131]
	v_accvgpr_write_b32 a44, v128
	v_fmac_f64_e32 v[112:113], v[110:111], v[128:129]
	v_accvgpr_write_b32 a45, v129
	v_accvgpr_write_b32 a46, v130
	;; [unrolled: 1-line block ×3, first 2 shown]
	global_load_dwordx4 v[128:131], v[132:133], off offset:864
	v_add_f64 v[114:115], v[48:49], -v[114:115]
	v_fma_f64 v[48:49], v[48:49], 2.0, -v[114:115]
	s_waitcnt vmcnt(0)
	v_mul_f64 v[108:109], v[106:107], v[130:131]
	v_fma_f64 v[110:111], v[104:105], v[128:129], -v[108:109]
	v_mul_f64 v[108:109], v[104:105], v[130:131]
	v_accvgpr_write_b32 a40, v128
	v_fmac_f64_e32 v[108:109], v[106:107], v[128:129]
	v_accvgpr_write_b32 a41, v129
	v_accvgpr_write_b32 a42, v130
	;; [unrolled: 1-line block ×3, first 2 shown]
	global_load_dwordx4 v[128:131], v[132:133], off offset:2912
	v_add_f64 v[110:111], v[44:45], -v[110:111]
	v_fma_f64 v[44:45], v[44:45], 2.0, -v[110:111]
	s_waitcnt vmcnt(0)
	v_mul_f64 v[104:105], v[102:103], v[130:131]
	v_accvgpr_write_b32 a36, v128
	v_fma_f64 v[106:107], v[100:101], v[128:129], -v[104:105]
	v_mul_f64 v[104:105], v[100:101], v[130:131]
	v_accvgpr_write_b32 a37, v129
	v_accvgpr_write_b32 a38, v130
	;; [unrolled: 1-line block ×3, first 2 shown]
	v_add_co_u32_e32 v130, vcc, s34, v120
	v_fmac_f64_e32 v[104:105], v[102:103], v[128:129]
	s_nop 0
	v_addc_co_u32_e32 v131, vcc, 0, v121, vcc
	global_load_dwordx4 v[216:219], v[130:131], off offset:3936
	global_load_dwordx4 v[138:141], v[130:131], off offset:864
	;; [unrolled: 1-line block ×3, first 2 shown]
	s_movk_i32 s34, 0xffc0
	s_mov_b32 s35, -1
	v_add_f64 v[132:133], v[54:55], -v[116:117]
	v_add_f64 v[116:117], v[50:51], -v[112:113]
	;; [unrolled: 1-line block ×5, first 2 shown]
	v_fma_f64 v[54:55], v[54:55], 2.0, -v[132:133]
	v_fma_f64 v[50:51], v[50:51], 2.0, -v[116:117]
	;; [unrolled: 1-line block ×5, first 2 shown]
	s_waitcnt vmcnt(2) lgkmcnt(0)
	v_mul_f64 v[136:137], v[60:61], v[218:219]
	s_waitcnt vmcnt(1)
	v_mul_f64 v[100:101], v[98:99], v[140:141]
	v_fma_f64 v[102:103], v[96:97], v[138:139], -v[100:101]
	v_mul_f64 v[100:101], v[96:97], v[140:141]
	v_accvgpr_write_b32 a72, v138
	v_fmac_f64_e32 v[100:101], v[98:99], v[138:139]
	v_accvgpr_write_b32 a73, v139
	v_accvgpr_write_b32 a74, v140
	;; [unrolled: 1-line block ×3, first 2 shown]
	global_load_dwordx4 v[138:141], v[130:131], off offset:2912
	v_fmac_f64_e32 v[136:137], v[62:63], v[216:217]
	v_add_f64 v[130:131], v[52:53], -v[118:119]
	v_add_f64 v[102:103], v[36:37], -v[102:103]
	;; [unrolled: 1-line block ×3, first 2 shown]
	v_fma_f64 v[52:53], v[52:53], 2.0, -v[130:131]
	v_fma_f64 v[36:37], v[36:37], 2.0, -v[102:103]
	;; [unrolled: 1-line block ×3, first 2 shown]
	v_add_f64 v[136:137], v[2:3], -v[136:137]
	v_fma_f64 v[2:3], v[2:3], 2.0, -v[136:137]
	s_waitcnt vmcnt(0)
	v_mul_f64 v[96:97], v[94:95], v[140:141]
	v_fma_f64 v[98:99], v[92:93], v[138:139], -v[96:97]
	v_mul_f64 v[96:97], v[92:93], v[140:141]
	v_lshl_add_u64 v[92:93], v[232:233], 0, s[34:35]
	s_mov_b64 s[34:35], 0x3c0
	v_cmp_gt_u64_e32 vcc, s[34:35], v[124:125]
	v_fmac_f64_e32 v[96:97], v[94:95], v[138:139]
	v_accvgpr_write_b32 a30, v138
	v_cndmask_b32_e32 v92, v92, v124, vcc
	v_cndmask_b32_e64 v93, v93, 0, vcc
	v_lshl_add_u64 v[94:95], v[92:93], 4, s[6:7]
	v_add_co_u32_e32 v94, vcc, s36, v94
	v_accvgpr_write_b32 a31, v139
	s_nop 0
	v_addc_co_u32_e32 v95, vcc, 0, v95, vcc
	v_accvgpr_write_b32 a32, v140
	v_accvgpr_write_b32 a33, v141
	global_load_dwordx4 v[138:141], v[94:95], off offset:2912
	v_add_f64 v[98:99], v[32:33], -v[98:99]
	v_add_f64 v[100:101], v[34:35], -v[96:97]
	v_fma_f64 v[32:33], v[32:33], 2.0, -v[98:99]
	s_mov_b64 s[6:7], 0x3bf
	v_fma_f64 v[34:35], v[34:35], 2.0, -v[100:101]
	s_barrier
	v_cmp_lt_u64_e32 vcc, s[6:7], v[124:125]
	s_movk_i32 s6, 0x7000
	s_waitcnt vmcnt(0)
	v_mul_f64 v[94:95], v[90:91], v[140:141]
	v_fma_f64 v[94:95], v[88:89], v[138:139], -v[94:95]
	v_mul_f64 v[88:89], v[88:89], v[140:141]
	v_fmac_f64_e32 v[88:89], v[90:91], v[138:139]
	v_mul_f64 v[90:91], v[86:87], v[252:253]
	v_fma_f64 v[90:91], v[84:85], v[250:251], -v[90:91]
	v_mul_f64 v[84:85], v[84:85], v[252:253]
	v_fmac_f64_e32 v[84:85], v[86:87], v[250:251]
	;; [unrolled: 4-line block ×7, first 2 shown]
	v_mul_f64 v[66:67], v[62:63], v[218:219]
	v_fma_f64 v[134:135], v[60:61], v[216:217], -v[66:67]
	v_add_f64 v[60:61], v[56:57], -v[126:127]
	v_add_f64 v[62:63], v[58:59], -v[122:123]
	v_fma_f64 v[56:57], v[56:57], 2.0, -v[60:61]
	v_fma_f64 v[58:59], v[58:59], 2.0, -v[62:63]
	ds_write_b128 v240, v[56:59]
	ds_write_b128 v240, v[60:63] offset:15360
	ds_write_b128 v240, v[52:55] offset:2048
	;; [unrolled: 1-line block ×13, first 2 shown]
	v_mov_b32_e32 v32, 0x780
	v_add_f64 v[94:95], v[28:29], -v[94:95]
	v_add_f64 v[96:97], v[30:31], -v[88:89]
	v_add_f64 v[88:89], v[24:25], -v[90:91]
	v_add_f64 v[90:91], v[26:27], -v[84:85]
	v_add_f64 v[84:85], v[20:21], -v[86:87]
	v_add_f64 v[86:87], v[22:23], -v[80:81]
	v_add_f64 v[80:81], v[16:17], -v[82:83]
	v_add_f64 v[82:83], v[18:19], -v[76:77]
	v_add_f64 v[76:77], v[12:13], -v[78:79]
	v_add_f64 v[78:79], v[14:15], -v[72:73]
	v_add_f64 v[66:67], v[8:9], -v[74:75]
	v_add_f64 v[68:69], v[10:11], -v[68:69]
	v_add_f64 v[70:71], v[4:5], -v[70:71]
	v_add_f64 v[72:73], v[6:7], -v[64:65]
	v_cndmask_b32_e32 v32, 0, v32, vcc
	v_add_co_u32_e32 v124, vcc, s6, v120
	v_fma_f64 v[28:29], v[28:29], 2.0, -v[94:95]
	v_fma_f64 v[30:31], v[30:31], 2.0, -v[96:97]
	;; [unrolled: 1-line block ×14, first 2 shown]
	v_add_f64 v[134:135], v[0:1], -v[134:135]
	v_add_lshl_u32 v233, v32, v92, 4
	v_addc_co_u32_e32 v125, vcc, 0, v121, vcc
	v_fma_f64 v[0:1], v[0:1], 2.0, -v[134:135]
	ds_write_b128 v233, v[28:31]
	ds_write_b128 v233, v[94:97] offset:15360
	ds_write_b128 v240, v[24:27] offset:31744
	;; [unrolled: 1-line block ×15, first 2 shown]
	s_waitcnt lgkmcnt(0)
	s_barrier
	ds_read_b128 v[56:59], v240
	ds_read_b128 v[116:119], v240 offset:30720
	ds_read_b128 v[52:55], v240 offset:2048
	;; [unrolled: 1-line block ×29, first 2 shown]
	global_load_dwordx4 v[212:215], v[124:125], off offset:1888
	global_load_dwordx4 v[208:211], v[124:125], off offset:3936
	v_add_co_u32_e32 v124, vcc, s30, v120
	v_accvgpr_write_b32 a24, v138
	s_nop 0
	v_addc_co_u32_e32 v125, vcc, 0, v121, vcc
	global_load_dwordx4 v[200:203], v[124:125], off offset:3936
	global_load_dwordx4 v[204:207], v[124:125], off offset:1888
	v_add_co_u32_e32 v124, vcc, s27, v120
	v_accvgpr_write_b32 a25, v139
	s_nop 0
	v_addc_co_u32_e32 v125, vcc, 0, v121, vcc
	global_load_dwordx4 v[196:199], v[124:125], off offset:1888
	global_load_dwordx4 v[192:195], v[124:125], off offset:3936
	v_add_co_u32_e32 v124, vcc, s33, v120
	v_accvgpr_write_b32 a26, v140
	s_nop 0
	v_addc_co_u32_e32 v125, vcc, 0, v121, vcc
	global_load_dwordx4 v[184:187], v[124:125], off offset:3936
	global_load_dwordx4 v[188:191], v[124:125], off offset:1888
	v_add_co_u32_e32 v124, vcc, s29, v120
	v_accvgpr_write_b32 a27, v141
	s_nop 0
	v_addc_co_u32_e32 v125, vcc, 0, v121, vcc
	global_load_dwordx4 v[180:183], v[124:125], off offset:1888
	global_load_dwordx4 v[176:179], v[124:125], off offset:3936
	s_waitcnt vmcnt(9) lgkmcnt(14)
	v_mul_f64 v[122:123], v[118:119], v[214:215]
	v_fma_f64 v[140:141], v[116:117], v[212:213], -v[122:123]
	v_mul_f64 v[116:117], v[116:117], v[214:215]
	v_fmac_f64_e32 v[116:117], v[118:119], v[212:213]
	s_waitcnt vmcnt(8)
	v_mul_f64 v[118:119], v[114:115], v[210:211]
	v_fma_f64 v[122:123], v[112:113], v[208:209], -v[118:119]
	v_mul_f64 v[112:113], v[112:113], v[210:211]
	v_fmac_f64_e32 v[112:113], v[114:115], v[208:209]
	s_waitcnt vmcnt(6)
	v_mul_f64 v[114:115], v[110:111], v[206:207]
	v_fma_f64 v[138:139], v[108:109], v[204:205], -v[114:115]
	v_mul_f64 v[108:109], v[108:109], v[206:207]
	v_fmac_f64_e32 v[108:109], v[110:111], v[204:205]
	v_mul_f64 v[110:111], v[106:107], v[202:203]
	v_fma_f64 v[114:115], v[104:105], v[200:201], -v[110:111]
	v_mul_f64 v[104:105], v[104:105], v[202:203]
	v_fmac_f64_e32 v[104:105], v[106:107], v[200:201]
	s_waitcnt vmcnt(5)
	v_mul_f64 v[106:107], v[102:103], v[198:199]
	v_fma_f64 v[118:119], v[100:101], v[196:197], -v[106:107]
	v_mul_f64 v[100:101], v[100:101], v[198:199]
	v_fmac_f64_e32 v[100:101], v[102:103], v[196:197]
	s_waitcnt vmcnt(4)
	;; [unrolled: 5-line block ×3, first 2 shown]
	v_mul_f64 v[98:99], v[94:95], v[190:191]
	v_fma_f64 v[98:99], v[92:93], v[188:189], -v[98:99]
	v_mul_f64 v[92:93], v[92:93], v[190:191]
	v_fmac_f64_e32 v[92:93], v[94:95], v[188:189]
	v_mul_f64 v[94:95], v[90:91], v[186:187]
	v_fma_f64 v[102:103], v[88:89], v[184:185], -v[94:95]
	v_mul_f64 v[88:89], v[88:89], v[186:187]
	v_fmac_f64_e32 v[88:89], v[90:91], v[184:185]
	s_waitcnt vmcnt(1) lgkmcnt(12)
	v_mul_f64 v[90:91], v[86:87], v[182:183]
	v_fma_f64 v[90:91], v[84:85], v[180:181], -v[90:91]
	v_mul_f64 v[84:85], v[84:85], v[182:183]
	v_fmac_f64_e32 v[84:85], v[86:87], v[180:181]
	s_waitcnt vmcnt(0) lgkmcnt(10)
	v_mul_f64 v[86:87], v[82:83], v[178:179]
	v_fma_f64 v[124:125], v[80:81], v[176:177], -v[86:87]
	v_mul_f64 v[126:127], v[80:81], v[178:179]
	v_add_co_u32_e32 v80, vcc, s26, v120
	v_fmac_f64_e32 v[126:127], v[82:83], v[176:177]
	s_nop 0
	v_addc_co_u32_e32 v81, vcc, 0, v121, vcc
	global_load_dwordx4 v[166:169], v[80:81], off offset:1888
	global_load_dwordx4 v[162:165], v[80:81], off offset:3936
	v_add_f64 v[86:87], v[28:29], -v[102:103]
	v_add_f64 v[88:89], v[30:31], -v[88:89]
	;; [unrolled: 1-line block ×4, first 2 shown]
	v_fma_f64 v[28:29], v[28:29], 2.0, -v[86:87]
	v_fma_f64 v[30:31], v[30:31], 2.0, -v[88:89]
	;; [unrolled: 1-line block ×4, first 2 shown]
	s_waitcnt vmcnt(1) lgkmcnt(8)
	v_mul_f64 v[82:83], v[78:79], v[168:169]
	v_fma_f64 v[106:107], v[76:77], v[166:167], -v[82:83]
	v_mul_f64 v[132:133], v[76:77], v[168:169]
	s_waitcnt vmcnt(0) lgkmcnt(6)
	v_mul_f64 v[76:77], v[74:75], v[164:165]
	v_fma_f64 v[134:135], v[72:73], v[162:163], -v[76:77]
	v_mul_f64 v[136:137], v[72:73], v[164:165]
	v_add_co_u32_e32 v72, vcc, s31, v120
	v_fmac_f64_e32 v[136:137], v[74:75], v[162:163]
	s_nop 0
	v_addc_co_u32_e32 v73, vcc, 0, v121, vcc
	global_load_dwordx4 v[154:157], v[72:73], off offset:3936
	global_load_dwordx4 v[158:161], v[72:73], off offset:1888
	v_fmac_f64_e32 v[132:133], v[78:79], v[166:167]
	v_add_f64 v[76:77], v[40:41], -v[118:119]
	v_add_f64 v[78:79], v[42:43], -v[100:101]
	;; [unrolled: 1-line block ×9, first 2 shown]
	v_fma_f64 v[40:41], v[40:41], 2.0, -v[76:77]
	v_fma_f64 v[42:43], v[42:43], 2.0, -v[78:79]
	;; [unrolled: 1-line block ×9, first 2 shown]
	s_waitcnt vmcnt(1) lgkmcnt(2)
	v_mul_f64 v[144:145], v[64:65], v[156:157]
	s_waitcnt vmcnt(0)
	v_mul_f64 v[74:75], v[70:71], v[160:161]
	v_fma_f64 v[146:147], v[68:69], v[158:159], -v[74:75]
	v_mul_f64 v[2:3], v[68:69], v[160:161]
	v_mul_f64 v[68:69], v[66:67], v[156:157]
	v_fma_f64 v[94:95], v[64:65], v[154:155], -v[68:69]
	v_add_co_u32_e32 v64, vcc, s28, v120
	v_fmac_f64_e32 v[144:145], v[66:67], v[154:155]
	s_nop 0
	v_addc_co_u32_e32 v65, vcc, 0, v121, vcc
	global_load_dwordx4 v[150:153], v[64:65], off offset:1888
	v_fmac_f64_e32 v[2:3], v[70:71], v[158:159]
	v_add_f64 v[118:119], v[6:7], -v[144:145]
	v_add_f64 v[66:67], v[54:55], -v[112:113]
	v_add_f64 v[68:69], v[48:49], -v[138:139]
	v_add_f64 v[70:71], v[50:51], -v[108:109]
	v_add_f64 v[72:73], v[44:45], -v[114:115]
	v_add_f64 v[74:75], v[46:47], -v[104:105]
	v_add_f64 v[104:105], v[16:17], -v[106:107]
	v_add_f64 v[106:107], v[18:19], -v[132:133]
	v_add_f64 v[108:109], v[12:13], -v[134:135]
	v_add_f64 v[112:113], v[8:9], -v[146:147]
	v_add_f64 v[114:115], v[10:11], -v[2:3]
	v_fma_f64 v[6:7], v[6:7], 2.0, -v[118:119]
	v_fma_f64 v[54:55], v[54:55], 2.0, -v[66:67]
	v_fma_f64 v[48:49], v[48:49], 2.0, -v[68:69]
	v_fma_f64 v[50:51], v[50:51], 2.0, -v[70:71]
	v_fma_f64 v[44:45], v[44:45], 2.0, -v[72:73]
	v_fma_f64 v[46:47], v[46:47], 2.0, -v[74:75]
	v_fma_f64 v[16:17], v[16:17], 2.0, -v[104:105]
	v_fma_f64 v[18:19], v[18:19], 2.0, -v[106:107]
	v_fma_f64 v[12:13], v[12:13], 2.0, -v[108:109]
	v_fma_f64 v[8:9], v[8:9], 2.0, -v[112:113]
	v_fma_f64 v[10:11], v[10:11], 2.0, -v[114:115]
	s_waitcnt vmcnt(0) lgkmcnt(0)
	v_mul_f64 v[64:65], v[62:63], v[152:153]
	v_mul_f64 v[0:1], v[60:61], v[152:153]
	v_fma_f64 v[120:121], v[60:61], v[150:151], -v[64:65]
	v_fmac_f64_e32 v[0:1], v[62:63], v[150:151]
	v_add_f64 v[60:61], v[56:57], -v[140:141]
	v_add_f64 v[62:63], v[58:59], -v[116:117]
	v_add_f64 v[64:65], v[52:53], -v[122:123]
	v_add_f64 v[116:117], v[4:5], -v[94:95]
	v_add_f64 v[120:121], v[128:129], -v[120:121]
	v_add_f64 v[122:123], v[130:131], -v[0:1]
	v_fma_f64 v[56:57], v[56:57], 2.0, -v[60:61]
	v_fma_f64 v[58:59], v[58:59], 2.0, -v[62:63]
	;; [unrolled: 1-line block ×6, first 2 shown]
	ds_write_b128 v240, v[56:59]
	ds_write_b128 v240, v[60:63] offset:30720
	ds_write_b128 v240, v[52:55] offset:2048
	;; [unrolled: 1-line block ×29, first 2 shown]
	s_waitcnt lgkmcnt(0)
	s_barrier
	ds_read_b128 v[0:3], v240
	global_load_dwordx4 v[4:7], v240, s[14:15]
	s_waitcnt vmcnt(0) lgkmcnt(0)
	v_mul_f64 v[8:9], v[2:3], v[6:7]
	v_mul_f64 v[10:11], v[0:1], v[6:7]
	v_fma_f64 v[8:9], v[0:1], v[4:5], -v[8:9]
	v_fmac_f64_e32 v[10:11], v[2:3], v[4:5]
	scratch_load_dword v4, off, off         ; 4-byte Folded Reload
	ds_read_b128 v[0:3], v240 offset:6144
	ds_write_b128 v240, v[8:11]
	s_waitcnt vmcnt(0)
	global_load_dwordx4 v[4:7], v4, s[14:15]
	s_waitcnt vmcnt(0) lgkmcnt(1)
	v_mul_f64 v[8:9], v[2:3], v[6:7]
	v_mul_f64 v[10:11], v[0:1], v[6:7]
	v_fma_f64 v[8:9], v[0:1], v[4:5], -v[8:9]
	v_fmac_f64_e32 v[10:11], v[2:3], v[4:5]
	scratch_load_dword v4, off, off offset:8 ; 4-byte Folded Reload
	ds_read_b128 v[0:3], v240 offset:12288
	ds_write_b128 v240, v[8:11] offset:6144
	s_waitcnt vmcnt(0)
	global_load_dwordx4 v[4:7], v4, s[14:15]
	s_waitcnt vmcnt(0) lgkmcnt(1)
	v_mul_f64 v[8:9], v[2:3], v[6:7]
	v_mul_f64 v[10:11], v[0:1], v[6:7]
	v_fma_f64 v[8:9], v[0:1], v[4:5], -v[8:9]
	v_fmac_f64_e32 v[10:11], v[2:3], v[4:5]
	scratch_load_dword v4, off, off offset:16 ; 4-byte Folded Reload
	ds_read_b128 v[0:3], v240 offset:18432
	ds_write_b128 v240, v[8:11] offset:12288
	;; [unrolled: 10-line block ×3, first 2 shown]
	s_waitcnt vmcnt(0)
	global_load_dwordx4 v[4:7], v4, s[14:15]
	s_waitcnt vmcnt(0) lgkmcnt(1)
	v_mul_f64 v[8:9], v[2:3], v[6:7]
	v_mul_f64 v[10:11], v[0:1], v[6:7]
	v_fma_f64 v[8:9], v[0:1], v[4:5], -v[8:9]
	v_fmac_f64_e32 v[10:11], v[2:3], v[4:5]
	v_or_b32_e32 v4, 0x7800, v240
	global_load_dwordx4 v[4:7], v4, s[14:15]
	ds_read_b128 v[0:3], v240 offset:30720
	ds_write_b128 v240, v[8:11] offset:24576
	s_waitcnt vmcnt(0) lgkmcnt(1)
	v_mul_f64 v[8:9], v[2:3], v[6:7]
	v_mul_f64 v[10:11], v[0:1], v[6:7]
	v_fma_f64 v[8:9], v[0:1], v[4:5], -v[8:9]
	v_fmac_f64_e32 v[10:11], v[2:3], v[4:5]
	v_or_b32_e32 v4, 0x9000, v240
	global_load_dwordx4 v[4:7], v4, s[14:15]
	ds_read_b128 v[0:3], v240 offset:36864
	ds_write_b128 v240, v[8:11] offset:30720
	;; [unrolled: 9-line block ×4, first 2 shown]
	s_waitcnt vmcnt(0) lgkmcnt(1)
	v_mul_f64 v[8:9], v[2:3], v[6:7]
	v_mul_f64 v[10:11], v[0:1], v[6:7]
	v_fma_f64 v[8:9], v[0:1], v[4:5], -v[8:9]
	v_fmac_f64_e32 v[10:11], v[2:3], v[4:5]
	global_load_dwordx4 v[4:7], v255, s[14:15]
	ds_read_b128 v[0:3], v240 offset:55296
	ds_write_b128 v240, v[8:11] offset:49152
	s_waitcnt vmcnt(0) lgkmcnt(1)
	v_mul_f64 v[8:9], v[2:3], v[6:7]
	v_mul_f64 v[10:11], v[0:1], v[6:7]
	v_fma_f64 v[8:9], v[0:1], v[4:5], -v[8:9]
	v_fmac_f64_e32 v[10:11], v[2:3], v[4:5]
	ds_read_b128 v[0:3], v240 offset:2048
	global_load_dwordx4 v[4:7], v240, s[14:15] offset:2048
	ds_write_b128 v240, v[8:11] offset:55296
	s_waitcnt vmcnt(0) lgkmcnt(1)
	v_mul_f64 v[8:9], v[2:3], v[6:7]
	v_mul_f64 v[10:11], v[0:1], v[6:7]
	v_fma_f64 v[8:9], v[0:1], v[4:5], -v[8:9]
	v_fmac_f64_e32 v[10:11], v[2:3], v[4:5]
	scratch_load_dword v4, off, off offset:4 ; 4-byte Folded Reload
	ds_read_b128 v[0:3], v240 offset:8192
	ds_write_b128 v240, v[8:11] offset:2048
	s_waitcnt vmcnt(0)
	global_load_dwordx4 v[4:7], v4, s[14:15]
	s_waitcnt vmcnt(0) lgkmcnt(1)
	v_mul_f64 v[8:9], v[2:3], v[6:7]
	v_mul_f64 v[10:11], v[0:1], v[6:7]
	v_fma_f64 v[8:9], v[0:1], v[4:5], -v[8:9]
	v_fmac_f64_e32 v[10:11], v[2:3], v[4:5]
	scratch_load_dword v4, off, off offset:12 ; 4-byte Folded Reload
	ds_read_b128 v[0:3], v240 offset:14336
	ds_write_b128 v240, v[8:11] offset:8192
	s_waitcnt vmcnt(0)
	global_load_dwordx4 v[4:7], v4, s[14:15]
	;; [unrolled: 10-line block ×4, first 2 shown]
	s_waitcnt vmcnt(0) lgkmcnt(1)
	v_mul_f64 v[8:9], v[2:3], v[6:7]
	v_mul_f64 v[10:11], v[0:1], v[6:7]
	v_fma_f64 v[8:9], v[0:1], v[4:5], -v[8:9]
	v_fmac_f64_e32 v[10:11], v[2:3], v[4:5]
	global_load_dwordx4 v[4:7], v254, s[14:15]
	ds_read_b128 v[0:3], v240 offset:32768
	ds_write_b128 v240, v[8:11] offset:26624
	s_waitcnt vmcnt(0) lgkmcnt(1)
	v_mul_f64 v[8:9], v[2:3], v[6:7]
	v_mul_f64 v[10:11], v[0:1], v[6:7]
	v_fma_f64 v[8:9], v[0:1], v[4:5], -v[8:9]
	v_fmac_f64_e32 v[10:11], v[2:3], v[4:5]
	global_load_dwordx4 v[4:7], v239, s[14:15]
	ds_read_b128 v[0:3], v240 offset:38912
	ds_write_b128 v240, v[8:11] offset:32768
	;; [unrolled: 8-line block ×5, first 2 shown]
	s_waitcnt vmcnt(0) lgkmcnt(1)
	v_mul_f64 v[8:9], v[2:3], v[6:7]
	v_mul_f64 v[10:11], v[0:1], v[6:7]
	v_fma_f64 v[8:9], v[0:1], v[4:5], -v[8:9]
	v_fmac_f64_e32 v[10:11], v[2:3], v[4:5]
	scratch_load_dword v4, off, off offset:36 ; 4-byte Folded Reload
	ds_read_b128 v[0:3], v240 offset:4096
	ds_write_b128 v240, v[8:11] offset:57344
	s_waitcnt vmcnt(0)
	global_load_dwordx4 v[4:7], v4, s[14:15]
	s_waitcnt vmcnt(0) lgkmcnt(1)
	v_mul_f64 v[8:9], v[2:3], v[6:7]
	v_mul_f64 v[10:11], v[0:1], v[6:7]
	v_fma_f64 v[8:9], v[0:1], v[4:5], -v[8:9]
	v_fmac_f64_e32 v[10:11], v[2:3], v[4:5]
	scratch_load_dword v4, off, off offset:44 ; 4-byte Folded Reload
	ds_read_b128 v[0:3], v240 offset:10240
	ds_write_b128 v240, v[8:11] offset:4096
	s_waitcnt vmcnt(0)
	global_load_dwordx4 v[4:7], v4, s[14:15]
	;; [unrolled: 10-line block ×5, first 2 shown]
	s_waitcnt vmcnt(0) lgkmcnt(1)
	v_mul_f64 v[8:9], v[2:3], v[6:7]
	v_mul_f64 v[10:11], v[0:1], v[6:7]
	v_fma_f64 v[8:9], v[0:1], v[4:5], -v[8:9]
	v_fmac_f64_e32 v[10:11], v[2:3], v[4:5]
	v_or_b32_e32 v4, 0x8800, v240
	global_load_dwordx4 v[4:7], v4, s[14:15]
	ds_read_b128 v[0:3], v240 offset:34816
	ds_write_b128 v240, v[8:11] offset:28672
	s_waitcnt vmcnt(0) lgkmcnt(1)
	v_mul_f64 v[8:9], v[2:3], v[6:7]
	v_mul_f64 v[10:11], v[0:1], v[6:7]
	v_fma_f64 v[8:9], v[0:1], v[4:5], -v[8:9]
	v_fmac_f64_e32 v[10:11], v[2:3], v[4:5]
	v_or_b32_e32 v4, 0xa000, v240
	global_load_dwordx4 v[4:7], v4, s[14:15]
	ds_read_b128 v[0:3], v240 offset:40960
	ds_write_b128 v240, v[8:11] offset:34816
	;; [unrolled: 9-line block ×5, first 2 shown]
	s_waitcnt vmcnt(0) lgkmcnt(1)
	v_mul_f64 v[8:9], v[2:3], v[6:7]
	v_mul_f64 v[10:11], v[0:1], v[6:7]
	v_fma_f64 v[8:9], v[0:1], v[4:5], -v[8:9]
	v_fmac_f64_e32 v[10:11], v[2:3], v[4:5]
	ds_write_b128 v240, v[8:11] offset:59392
	s_waitcnt lgkmcnt(0)
	s_barrier
	ds_read_b128 v[64:67], v240
	ds_read_b128 v[84:87], v240 offset:6144
	ds_read_b128 v[108:111], v240 offset:12288
	;; [unrolled: 1-line block ×29, first 2 shown]
	s_waitcnt lgkmcnt(14)
	v_add_f64 v[104:105], v[64:65], v[108:109]
	v_add_f64 v[104:105], v[104:105], v[112:113]
	;; [unrolled: 1-line block ×5, first 2 shown]
	v_fma_f64 v[254:255], -0.5, v[104:105], v[64:65]
	v_add_f64 v[104:105], v[110:111], -v[132:133]
	v_fma_f64 v[124:125], s[10:11], v[104:105], v[254:255]
	v_add_f64 v[120:121], v[114:115], -v[118:119]
	v_add_f64 v[122:123], v[108:109], -v[112:113]
	;; [unrolled: 1-line block ×3, first 2 shown]
	v_fmac_f64_e32 v[254:255], s[4:5], v[104:105]
	v_fmac_f64_e32 v[124:125], s[12:13], v[120:121]
	v_add_f64 v[122:123], v[122:123], v[126:127]
	v_fmac_f64_e32 v[254:255], s[2:3], v[120:121]
	v_fmac_f64_e32 v[124:125], s[8:9], v[122:123]
	;; [unrolled: 1-line block ×3, first 2 shown]
	v_add_f64 v[122:123], v[108:109], v[130:131]
	v_fmac_f64_e32 v[64:65], -0.5, v[122:123]
	v_fma_f64 v[146:147], s[4:5], v[120:121], v[64:65]
	v_fmac_f64_e32 v[64:65], s[10:11], v[120:121]
	v_fmac_f64_e32 v[146:147], s[12:13], v[104:105]
	v_fmac_f64_e32 v[64:65], s[2:3], v[104:105]
	v_add_f64 v[104:105], v[66:67], v[110:111]
	v_add_f64 v[122:123], v[112:113], -v[108:109]
	v_add_f64 v[126:127], v[116:117], -v[130:131]
	v_add_f64 v[104:105], v[104:105], v[114:115]
	v_add_f64 v[122:123], v[122:123], v[126:127]
	;; [unrolled: 1-line block ×3, first 2 shown]
	v_fmac_f64_e32 v[146:147], s[8:9], v[122:123]
	v_fmac_f64_e32 v[64:65], s[8:9], v[122:123]
	v_add_f64 v[122:123], v[104:105], v[132:133]
	v_add_f64 v[104:105], v[114:115], v[118:119]
	v_fma_f64 v[238:239], -0.5, v[104:105], v[66:67]
	v_add_f64 v[104:105], v[108:109], -v[130:131]
	v_fma_f64 v[236:237], s[4:5], v[104:105], v[238:239]
	v_add_f64 v[108:109], v[112:113], -v[116:117]
	v_add_f64 v[112:113], v[110:111], -v[114:115]
	;; [unrolled: 1-line block ×3, first 2 shown]
	v_fmac_f64_e32 v[238:239], s[10:11], v[104:105]
	v_fmac_f64_e32 v[236:237], s[2:3], v[108:109]
	v_add_f64 v[112:113], v[112:113], v[116:117]
	v_fmac_f64_e32 v[238:239], s[12:13], v[108:109]
	v_fmac_f64_e32 v[236:237], s[8:9], v[112:113]
	;; [unrolled: 1-line block ×3, first 2 shown]
	v_add_f64 v[112:113], v[110:111], v[132:133]
	v_fmac_f64_e32 v[66:67], -0.5, v[112:113]
	v_fma_f64 v[126:127], s[10:11], v[108:109], v[66:67]
	v_add_f64 v[110:111], v[114:115], -v[110:111]
	v_add_f64 v[112:113], v[118:119], -v[132:133]
	v_fmac_f64_e32 v[66:67], s[4:5], v[108:109]
	v_add_f64 v[108:109], v[92:93], v[96:97]
	v_fmac_f64_e32 v[126:127], s[2:3], v[104:105]
	v_add_f64 v[110:111], v[110:111], v[112:113]
	v_fmac_f64_e32 v[66:67], s[12:13], v[104:105]
	v_fma_f64 v[114:115], -0.5, v[108:109], v[84:85]
	v_add_f64 v[108:109], v[90:91], -v[102:103]
	v_fmac_f64_e32 v[126:127], s[8:9], v[110:111]
	v_fmac_f64_e32 v[66:67], s[8:9], v[110:111]
	v_fma_f64 v[110:111], s[10:11], v[108:109], v[114:115]
	v_add_f64 v[112:113], v[94:95], -v[98:99]
	v_add_f64 v[116:117], v[88:89], -v[92:93]
	;; [unrolled: 1-line block ×3, first 2 shown]
	v_fmac_f64_e32 v[114:115], s[4:5], v[108:109]
	v_fmac_f64_e32 v[110:111], s[12:13], v[112:113]
	v_add_f64 v[116:117], v[116:117], v[118:119]
	v_fmac_f64_e32 v[114:115], s[2:3], v[112:113]
	v_fmac_f64_e32 v[110:111], s[8:9], v[116:117]
	;; [unrolled: 1-line block ×3, first 2 shown]
	v_add_f64 v[116:117], v[88:89], v[100:101]
	v_add_f64 v[104:105], v[84:85], v[88:89]
	v_fmac_f64_e32 v[84:85], -0.5, v[116:117]
	v_fma_f64 v[128:129], s[4:5], v[112:113], v[84:85]
	v_fmac_f64_e32 v[84:85], s[10:11], v[112:113]
	v_fmac_f64_e32 v[128:129], s[12:13], v[108:109]
	;; [unrolled: 1-line block ×3, first 2 shown]
	v_add_f64 v[108:109], v[86:87], v[90:91]
	v_add_f64 v[108:109], v[108:109], v[94:95]
	;; [unrolled: 1-line block ×7, first 2 shown]
	v_add_f64 v[116:117], v[92:93], -v[88:89]
	v_fma_f64 v[138:139], -0.5, v[108:109], v[86:87]
	v_add_f64 v[88:89], v[88:89], -v[100:101]
	v_add_f64 v[104:105], v[104:105], v[100:101]
	v_add_f64 v[118:119], v[96:97], -v[100:101]
	v_fma_f64 v[100:101], s[4:5], v[88:89], v[138:139]
	v_add_f64 v[92:93], v[92:93], -v[96:97]
	v_add_f64 v[96:97], v[90:91], -v[94:95]
	v_add_f64 v[108:109], v[102:103], -v[98:99]
	v_fmac_f64_e32 v[138:139], s[10:11], v[88:89]
	v_fmac_f64_e32 v[100:101], s[2:3], v[92:93]
	v_add_f64 v[96:97], v[96:97], v[108:109]
	v_fmac_f64_e32 v[138:139], s[12:13], v[92:93]
	v_fmac_f64_e32 v[100:101], s[8:9], v[96:97]
	;; [unrolled: 1-line block ×3, first 2 shown]
	v_add_f64 v[96:97], v[90:91], v[102:103]
	v_fmac_f64_e32 v[86:87], -0.5, v[96:97]
	v_fma_f64 v[96:97], s[10:11], v[92:93], v[86:87]
	v_add_f64 v[90:91], v[94:95], -v[90:91]
	v_add_f64 v[94:95], v[98:99], -v[102:103]
	v_fmac_f64_e32 v[86:87], s[4:5], v[92:93]
	v_add_f64 v[90:91], v[90:91], v[94:95]
	v_fmac_f64_e32 v[86:87], s[12:13], v[88:89]
	v_add_f64 v[116:117], v[116:117], v[118:119]
	v_fmac_f64_e32 v[86:87], s[8:9], v[90:91]
	v_fmac_f64_e32 v[84:85], s[8:9], v[116:117]
	v_mul_f64 v[94:95], v[86:87], s[10:11]
	v_fmac_f64_e32 v[94:95], s[18:19], v[84:85]
	v_mul_f64 v[86:87], v[86:87], s[18:19]
	v_add_f64 v[108:109], v[64:65], v[94:95]
	v_fmac_f64_e32 v[86:87], s[4:5], v[84:85]
	v_add_f64 v[84:85], v[64:65], -v[94:95]
	v_add_f64 v[64:65], v[4:5], v[68:69]
	v_add_f64 v[64:65], v[64:65], v[72:73]
	s_waitcnt lgkmcnt(13)
	v_add_f64 v[64:65], v[64:65], v[76:77]
	v_fmac_f64_e32 v[96:97], s[2:3], v[88:89]
	v_mul_f64 v[88:89], v[100:101], s[12:13]
	v_add_f64 v[118:119], v[122:123], v[120:121]
	v_add_f64 v[94:95], v[122:123], -v[120:121]
	s_waitcnt lgkmcnt(11)
	v_add_f64 v[120:121], v[64:65], v[16:17]
	v_add_f64 v[64:65], v[72:73], v[76:77]
	v_fmac_f64_e32 v[128:129], s[8:9], v[116:117]
	v_fmac_f64_e32 v[96:97], s[8:9], v[90:91]
	v_add_f64 v[116:117], v[106:107], v[104:105]
	v_fmac_f64_e32 v[88:89], s[20:21], v[110:111]
	v_add_f64 v[92:93], v[106:107], -v[104:105]
	v_fma_f64 v[104:105], -0.5, v[64:65], v[4:5]
	v_add_f64 v[64:65], v[70:71], -v[18:19]
	v_add_f64 v[130:131], v[124:125], v[88:89]
	v_mul_f64 v[90:91], v[96:97], s[10:11]
	v_mul_f64 v[102:103], v[110:111], s[2:3]
	;; [unrolled: 1-line block ×3, first 2 shown]
	v_add_f64 v[110:111], v[66:67], v[86:87]
	v_add_f64 v[96:97], v[124:125], -v[88:89]
	v_add_f64 v[86:87], v[66:67], -v[86:87]
	v_fma_f64 v[124:125], s[10:11], v[64:65], v[104:105]
	v_add_f64 v[66:67], v[74:75], -v[78:79]
	v_add_f64 v[106:107], v[68:69], -v[72:73]
	;; [unrolled: 1-line block ×3, first 2 shown]
	v_fmac_f64_e32 v[104:105], s[4:5], v[64:65]
	v_fmac_f64_e32 v[124:125], s[12:13], v[66:67]
	v_add_f64 v[106:107], v[106:107], v[122:123]
	v_fmac_f64_e32 v[104:105], s[2:3], v[66:67]
	v_fmac_f64_e32 v[124:125], s[8:9], v[106:107]
	;; [unrolled: 1-line block ×3, first 2 shown]
	v_add_f64 v[106:107], v[68:69], v[16:17]
	v_fmac_f64_e32 v[90:91], s[8:9], v[128:129]
	v_fmac_f64_e32 v[4:5], -0.5, v[106:107]
	v_add_f64 v[134:135], v[146:147], v[90:91]
	v_fmac_f64_e32 v[102:103], s[20:21], v[100:101]
	v_add_f64 v[100:101], v[146:147], -v[90:91]
	v_fma_f64 v[146:147], s[4:5], v[66:67], v[4:5]
	v_fmac_f64_e32 v[4:5], s[10:11], v[66:67]
	v_fmac_f64_e32 v[146:147], s[12:13], v[64:65]
	;; [unrolled: 1-line block ×3, first 2 shown]
	v_add_f64 v[64:65], v[6:7], v[70:71]
	v_add_f64 v[64:65], v[64:65], v[74:75]
	v_add_f64 v[106:107], v[72:73], -v[68:69]
	v_add_f64 v[122:123], v[76:77], -v[16:17]
	v_add_f64 v[64:65], v[64:65], v[78:79]
	v_mul_f64 v[98:99], v[138:139], s[12:13]
	v_add_f64 v[106:107], v[106:107], v[122:123]
	v_add_f64 v[122:123], v[64:65], v[18:19]
	;; [unrolled: 1-line block ×3, first 2 shown]
	v_fmac_f64_e32 v[98:99], s[16:17], v[114:115]
	v_fmac_f64_e32 v[140:141], s[4:5], v[128:129]
	;; [unrolled: 1-line block ×4, first 2 shown]
	v_fma_f64 v[106:107], -0.5, v[64:65], v[6:7]
	v_add_f64 v[16:17], v[68:69], -v[16:17]
	v_add_f64 v[112:113], v[254:255], v[98:99]
	v_add_f64 v[132:133], v[236:237], v[102:103]
	;; [unrolled: 1-line block ×3, first 2 shown]
	v_add_f64 v[88:89], v[254:255], -v[98:99]
	v_add_f64 v[98:99], v[236:237], -v[102:103]
	v_add_f64 v[102:103], v[126:127], -v[140:141]
	v_fma_f64 v[126:127], s[4:5], v[16:17], v[106:107]
	v_add_f64 v[64:65], v[72:73], -v[76:77]
	v_add_f64 v[66:67], v[70:71], -v[74:75]
	;; [unrolled: 1-line block ×3, first 2 shown]
	v_fmac_f64_e32 v[106:107], s[10:11], v[16:17]
	v_fmac_f64_e32 v[126:127], s[2:3], v[64:65]
	v_add_f64 v[66:67], v[66:67], v[68:69]
	v_fmac_f64_e32 v[106:107], s[12:13], v[64:65]
	v_fmac_f64_e32 v[126:127], s[8:9], v[66:67]
	;; [unrolled: 1-line block ×3, first 2 shown]
	v_add_f64 v[66:67], v[70:71], v[18:19]
	v_fmac_f64_e32 v[6:7], -0.5, v[66:67]
	v_fma_f64 v[236:237], s[10:11], v[64:65], v[6:7]
	v_add_f64 v[66:67], v[74:75], -v[70:71]
	v_add_f64 v[18:19], v[78:79], -v[18:19]
	v_fmac_f64_e32 v[6:7], s[4:5], v[64:65]
	v_fmac_f64_e32 v[236:237], s[2:3], v[16:17]
	v_add_f64 v[18:19], v[66:67], v[18:19]
	v_fmac_f64_e32 v[6:7], s[12:13], v[16:17]
	v_fmac_f64_e32 v[236:237], s[8:9], v[18:19]
	;; [unrolled: 1-line block ×3, first 2 shown]
	v_add_f64 v[18:19], v[28:29], v[24:25]
	v_fma_f64 v[18:19], -0.5, v[18:19], v[0:1]
	s_waitcnt lgkmcnt(10)
	v_add_f64 v[64:65], v[34:35], -v[22:23]
	v_fma_f64 v[66:67], s[10:11], v[64:65], v[18:19]
	v_add_f64 v[68:69], v[30:31], -v[26:27]
	v_add_f64 v[70:71], v[32:33], -v[28:29]
	v_add_f64 v[72:73], v[20:21], -v[24:25]
	v_fmac_f64_e32 v[18:19], s[4:5], v[64:65]
	v_fmac_f64_e32 v[66:67], s[12:13], v[68:69]
	v_add_f64 v[70:71], v[70:71], v[72:73]
	v_fmac_f64_e32 v[18:19], s[2:3], v[68:69]
	v_fmac_f64_e32 v[66:67], s[8:9], v[70:71]
	;; [unrolled: 1-line block ×3, first 2 shown]
	v_add_f64 v[70:71], v[32:33], v[20:21]
	v_add_f64 v[16:17], v[0:1], v[32:33]
	v_fmac_f64_e32 v[0:1], -0.5, v[70:71]
	v_fma_f64 v[78:79], s[4:5], v[68:69], v[0:1]
	v_fmac_f64_e32 v[0:1], s[10:11], v[68:69]
	v_fmac_f64_e32 v[78:79], s[12:13], v[64:65]
	;; [unrolled: 1-line block ×3, first 2 shown]
	v_add_f64 v[64:65], v[2:3], v[34:35]
	v_mul_f64 v[128:129], v[138:139], s[16:17]
	v_add_f64 v[64:65], v[64:65], v[30:31]
	v_fmac_f64_e32 v[128:129], s[2:3], v[114:115]
	v_add_f64 v[16:17], v[16:17], v[28:29]
	v_add_f64 v[64:65], v[64:65], v[26:27]
	;; [unrolled: 1-line block ×3, first 2 shown]
	v_add_f64 v[90:91], v[238:239], -v[128:129]
	v_add_f64 v[16:17], v[16:17], v[24:25]
	v_add_f64 v[238:239], v[64:65], v[22:23]
	;; [unrolled: 1-line block ×4, first 2 shown]
	v_add_f64 v[72:73], v[24:25], -v[20:21]
	v_fma_f64 v[128:129], -0.5, v[64:65], v[2:3]
	v_add_f64 v[20:21], v[32:33], -v[20:21]
	v_add_f64 v[70:71], v[28:29], -v[32:33]
	v_fma_f64 v[32:33], s[4:5], v[20:21], v[128:129]
	v_add_f64 v[24:25], v[28:29], -v[24:25]
	v_add_f64 v[28:29], v[34:35], -v[30:31]
	;; [unrolled: 1-line block ×3, first 2 shown]
	v_fmac_f64_e32 v[128:129], s[10:11], v[20:21]
	v_fmac_f64_e32 v[32:33], s[2:3], v[24:25]
	v_add_f64 v[28:29], v[28:29], v[64:65]
	v_fmac_f64_e32 v[128:129], s[12:13], v[24:25]
	v_fmac_f64_e32 v[32:33], s[8:9], v[28:29]
	;; [unrolled: 1-line block ×3, first 2 shown]
	v_add_f64 v[28:29], v[34:35], v[22:23]
	v_fmac_f64_e32 v[2:3], -0.5, v[28:29]
	v_fma_f64 v[138:139], s[10:11], v[24:25], v[2:3]
	v_add_f64 v[28:29], v[30:31], -v[34:35]
	v_add_f64 v[22:23], v[26:27], -v[22:23]
	v_fmac_f64_e32 v[2:3], s[4:5], v[24:25]
	v_fmac_f64_e32 v[138:139], s[2:3], v[20:21]
	v_add_f64 v[22:23], v[28:29], v[22:23]
	v_fmac_f64_e32 v[2:3], s[12:13], v[20:21]
	v_add_f64 v[70:71], v[70:71], v[72:73]
	v_fmac_f64_e32 v[138:139], s[8:9], v[22:23]
	v_fmac_f64_e32 v[2:3], s[8:9], v[22:23]
	v_mul_f64 v[140:141], v[66:67], s[2:3]
	v_fmac_f64_e32 v[78:79], s[8:9], v[70:71]
	v_fmac_f64_e32 v[0:1], s[8:9], v[70:71]
	v_mul_f64 v[20:21], v[32:33], s[12:13]
	v_mul_f64 v[26:27], v[2:3], s[10:11]
	v_fmac_f64_e32 v[140:141], s[20:21], v[32:33]
	v_mul_f64 v[32:33], v[138:139], s[8:9]
	v_mul_f64 v[22:23], v[138:139], s[10:11]
	v_fmac_f64_e32 v[26:27], s[18:19], v[0:1]
	v_fmac_f64_e32 v[32:33], s[4:5], v[78:79]
	v_mul_f64 v[2:3], v[2:3], s[18:19]
	v_fmac_f64_e32 v[22:23], s[8:9], v[78:79]
	v_add_f64 v[28:29], v[4:5], v[26:27]
	v_add_f64 v[78:79], v[236:237], v[32:33]
	v_fmac_f64_e32 v[2:3], s[4:5], v[0:1]
	v_add_f64 v[0:1], v[4:5], -v[26:27]
	v_add_f64 v[26:27], v[236:237], -v[32:33]
	s_waitcnt lgkmcnt(7)
	v_add_f64 v[32:33], v[12:13], v[48:49]
	s_waitcnt lgkmcnt(5)
	v_add_f64 v[32:33], v[32:33], v[44:45]
	v_mul_f64 v[34:35], v[128:129], s[12:13]
	s_waitcnt lgkmcnt(3)
	v_add_f64 v[32:33], v[32:33], v[40:41]
	v_add_f64 v[68:69], v[120:121], v[16:17]
	v_fmac_f64_e32 v[34:35], s[16:17], v[18:19]
	v_mul_f64 v[128:129], v[128:129], s[16:17]
	v_add_f64 v[16:17], v[120:121], -v[16:17]
	s_waitcnt lgkmcnt(1)
	v_add_f64 v[120:121], v[32:33], v[36:37]
	v_add_f64 v[32:33], v[44:45], v[40:41]
	v_fmac_f64_e32 v[20:21], s[20:21], v[66:67]
	v_add_f64 v[64:65], v[104:105], v[34:35]
	v_fmac_f64_e32 v[128:129], s[2:3], v[18:19]
	v_add_f64 v[4:5], v[104:105], -v[34:35]
	v_fma_f64 v[104:105], -0.5, v[32:33], v[12:13]
	v_add_f64 v[32:33], v[50:51], -v[38:39]
	v_add_f64 v[72:73], v[124:125], v[20:21]
	v_add_f64 v[70:71], v[122:123], v[238:239]
	v_add_f64 v[30:31], v[6:7], v[2:3]
	v_add_f64 v[66:67], v[106:107], v[128:129]
	v_add_f64 v[20:21], v[124:125], -v[20:21]
	v_add_f64 v[18:19], v[122:123], -v[238:239]
	;; [unrolled: 1-line block ×4, first 2 shown]
	v_fma_f64 v[124:125], s[10:11], v[32:33], v[104:105]
	v_add_f64 v[34:35], v[46:47], -v[42:43]
	v_add_f64 v[106:107], v[48:49], -v[44:45]
	v_add_f64 v[122:123], v[36:37], -v[40:41]
	v_fmac_f64_e32 v[104:105], s[4:5], v[32:33]
	v_fmac_f64_e32 v[124:125], s[12:13], v[34:35]
	v_add_f64 v[106:107], v[106:107], v[122:123]
	v_fmac_f64_e32 v[104:105], s[2:3], v[34:35]
	v_fmac_f64_e32 v[124:125], s[8:9], v[106:107]
	;; [unrolled: 1-line block ×3, first 2 shown]
	v_add_f64 v[106:107], v[48:49], v[36:37]
	v_fmac_f64_e32 v[12:13], -0.5, v[106:107]
	v_add_f64 v[76:77], v[146:147], v[22:23]
	v_add_f64 v[24:25], v[146:147], -v[22:23]
	v_fma_f64 v[146:147], s[4:5], v[34:35], v[12:13]
	v_fmac_f64_e32 v[12:13], s[10:11], v[34:35]
	v_fmac_f64_e32 v[146:147], s[12:13], v[32:33]
	;; [unrolled: 1-line block ×3, first 2 shown]
	v_add_f64 v[32:33], v[14:15], v[50:51]
	v_add_f64 v[32:33], v[32:33], v[46:47]
	v_add_f64 v[106:107], v[44:45], -v[48:49]
	v_add_f64 v[122:123], v[40:41], -v[36:37]
	v_add_f64 v[32:33], v[32:33], v[42:43]
	v_add_f64 v[106:107], v[106:107], v[122:123]
	;; [unrolled: 1-line block ×4, first 2 shown]
	v_fmac_f64_e32 v[146:147], s[8:9], v[106:107]
	v_fmac_f64_e32 v[12:13], s[8:9], v[106:107]
	v_fma_f64 v[106:107], -0.5, v[32:33], v[14:15]
	v_add_f64 v[32:33], v[48:49], -v[36:37]
	v_add_f64 v[74:75], v[126:127], v[140:141]
	v_add_f64 v[22:23], v[126:127], -v[140:141]
	v_fma_f64 v[126:127], s[4:5], v[32:33], v[106:107]
	v_add_f64 v[34:35], v[44:45], -v[40:41]
	v_add_f64 v[36:37], v[50:51], -v[46:47]
	;; [unrolled: 1-line block ×3, first 2 shown]
	v_fmac_f64_e32 v[106:107], s[10:11], v[32:33]
	v_fmac_f64_e32 v[126:127], s[2:3], v[34:35]
	v_add_f64 v[36:37], v[36:37], v[40:41]
	v_fmac_f64_e32 v[106:107], s[12:13], v[34:35]
	v_fmac_f64_e32 v[126:127], s[8:9], v[36:37]
	;; [unrolled: 1-line block ×3, first 2 shown]
	v_add_f64 v[36:37], v[50:51], v[38:39]
	v_fmac_f64_e32 v[14:15], -0.5, v[36:37]
	v_fma_f64 v[236:237], s[10:11], v[34:35], v[14:15]
	v_fmac_f64_e32 v[14:15], s[4:5], v[34:35]
	v_fmac_f64_e32 v[236:237], s[2:3], v[32:33]
	v_fmac_f64_e32 v[14:15], s[12:13], v[32:33]
	v_add_f64 v[32:33], v[8:9], v[80:81]
	v_add_f64 v[32:33], v[32:33], v[60:61]
	;; [unrolled: 1-line block ×3, first 2 shown]
	v_add_f64 v[36:37], v[46:47], -v[50:51]
	v_add_f64 v[38:39], v[42:43], -v[38:39]
	s_waitcnt lgkmcnt(0)
	v_add_f64 v[238:239], v[32:33], v[52:53]
	v_add_f64 v[32:33], v[60:61], v[56:57]
	;; [unrolled: 1-line block ×3, first 2 shown]
	v_fma_f64 v[46:47], -0.5, v[32:33], v[8:9]
	v_add_f64 v[32:33], v[82:83], -v[54:55]
	v_fmac_f64_e32 v[236:237], s[8:9], v[36:37]
	v_fmac_f64_e32 v[14:15], s[8:9], v[36:37]
	v_fma_f64 v[34:35], s[10:11], v[32:33], v[46:47]
	v_add_f64 v[36:37], v[62:63], -v[58:59]
	v_add_f64 v[38:39], v[80:81], -v[60:61]
	;; [unrolled: 1-line block ×3, first 2 shown]
	v_fmac_f64_e32 v[46:47], s[4:5], v[32:33]
	v_fmac_f64_e32 v[34:35], s[12:13], v[36:37]
	v_add_f64 v[38:39], v[38:39], v[40:41]
	v_fmac_f64_e32 v[46:47], s[2:3], v[36:37]
	v_fmac_f64_e32 v[34:35], s[8:9], v[38:39]
	;; [unrolled: 1-line block ×3, first 2 shown]
	v_add_f64 v[38:39], v[80:81], v[52:53]
	v_fmac_f64_e32 v[8:9], -0.5, v[38:39]
	v_fma_f64 v[50:51], s[4:5], v[36:37], v[8:9]
	v_fmac_f64_e32 v[8:9], s[10:11], v[36:37]
	v_fmac_f64_e32 v[50:51], s[12:13], v[32:33]
	;; [unrolled: 1-line block ×3, first 2 shown]
	v_add_f64 v[32:33], v[10:11], v[82:83]
	v_add_f64 v[32:33], v[32:33], v[62:63]
	;; [unrolled: 1-line block ×3, first 2 shown]
	v_add_f64 v[38:39], v[60:61], -v[80:81]
	v_add_f64 v[40:41], v[56:57], -v[52:53]
	v_add_f64 v[254:255], v[32:33], v[54:55]
	v_add_f64 v[32:33], v[62:63], v[58:59]
	;; [unrolled: 1-line block ×3, first 2 shown]
	v_fma_f64 v[128:129], -0.5, v[32:33], v[10:11]
	v_add_f64 v[32:33], v[80:81], -v[52:53]
	v_fmac_f64_e32 v[50:51], s[8:9], v[38:39]
	v_fmac_f64_e32 v[8:9], s[8:9], v[38:39]
	v_fma_f64 v[38:39], s[4:5], v[32:33], v[128:129]
	v_add_f64 v[36:37], v[60:61], -v[56:57]
	v_add_f64 v[40:41], v[82:83], -v[62:63]
	;; [unrolled: 1-line block ×3, first 2 shown]
	v_fmac_f64_e32 v[128:129], s[10:11], v[32:33]
	v_fmac_f64_e32 v[38:39], s[2:3], v[36:37]
	v_add_f64 v[40:41], v[40:41], v[42:43]
	v_fmac_f64_e32 v[128:129], s[12:13], v[36:37]
	v_fmac_f64_e32 v[38:39], s[8:9], v[40:41]
	;; [unrolled: 1-line block ×3, first 2 shown]
	v_add_f64 v[40:41], v[82:83], v[54:55]
	v_fmac_f64_e32 v[10:11], -0.5, v[40:41]
	v_fma_f64 v[52:53], s[10:11], v[36:37], v[10:11]
	v_add_f64 v[40:41], v[62:63], -v[82:83]
	v_add_f64 v[42:43], v[58:59], -v[54:55]
	v_fmac_f64_e32 v[10:11], s[4:5], v[36:37]
	v_fmac_f64_e32 v[52:53], s[2:3], v[32:33]
	v_add_f64 v[40:41], v[40:41], v[42:43]
	v_fmac_f64_e32 v[10:11], s[12:13], v[32:33]
	v_fmac_f64_e32 v[52:53], s[8:9], v[40:41]
	;; [unrolled: 1-line block ×3, first 2 shown]
	v_mul_f64 v[54:55], v[38:39], s[12:13]
	v_mul_f64 v[58:59], v[52:53], s[10:11]
	;; [unrolled: 1-line block ×8, first 2 shown]
	v_fmac_f64_e32 v[54:55], s[20:21], v[34:35]
	v_fmac_f64_e32 v[58:59], s[8:9], v[50:51]
	;; [unrolled: 1-line block ×8, first 2 shown]
	v_add_f64 v[40:41], v[120:121], v[238:239]
	v_add_f64 v[36:37], v[124:125], v[54:55]
	;; [unrolled: 1-line block ×10, first 2 shown]
	v_add_f64 v[56:57], v[120:121], -v[238:239]
	v_add_f64 v[52:53], v[124:125], -v[54:55]
	;; [unrolled: 1-line block ×10, first 2 shown]
	s_barrier
	ds_write_b128 v173, v[116:119]
	ds_write_b128 v173, v[130:133] offset:16
	ds_write_b128 v173, v[134:137] offset:32
	ds_write_b128 v173, v[108:111] offset:48
	ds_write_b128 v173, v[112:115] offset:64
	ds_write_b128 v173, v[92:95] offset:80
	ds_write_b128 v173, v[96:99] offset:96
	ds_write_b128 v173, v[100:103] offset:112
	ds_write_b128 v173, v[84:87] offset:128
	ds_write_b128 v173, v[88:91] offset:144
	ds_write_b128 v174, v[68:71]
	ds_write_b128 v174, v[72:75] offset:16
	ds_write_b128 v174, v[76:79] offset:32
	ds_write_b128 v174, v[28:31] offset:48
	ds_write_b128 v174, v[64:67] offset:64
	ds_write_b128 v174, v[16:19] offset:80
	ds_write_b128 v174, v[20:23] offset:96
	ds_write_b128 v174, v[24:27] offset:112
	ds_write_b128 v174, v[0:3] offset:128
	ds_write_b128 v174, v[4:7] offset:144
	;; [unrolled: 10-line block ×3, first 2 shown]
	s_waitcnt lgkmcnt(0)
	s_barrier
	ds_read_b128 v[16:19], v240
	ds_read_b128 v[116:119], v240 offset:10240
	ds_read_b128 v[112:115], v240 offset:20480
	ds_read_b128 v[108:111], v240 offset:30720
	ds_read_b128 v[104:107], v240 offset:40960
	ds_read_b128 v[100:103], v240 offset:51200
	ds_read_b128 v[12:15], v240 offset:2048
	ds_read_b128 v[96:99], v240 offset:12288
	ds_read_b128 v[92:95], v240 offset:22528
	ds_read_b128 v[88:91], v240 offset:32768
	ds_read_b128 v[84:87], v240 offset:43008
	ds_read_b128 v[80:83], v240 offset:53248
	ds_read_b128 v[8:11], v240 offset:4096
	ds_read_b128 v[76:79], v240 offset:14336
	ds_read_b128 v[72:75], v240 offset:24576
	ds_read_b128 v[68:71], v240 offset:34816
	ds_read_b128 v[64:67], v240 offset:45056
	ds_read_b128 v[60:63], v240 offset:55296
	ds_read_b128 v[4:7], v240 offset:6144
	ds_read_b128 v[56:59], v240 offset:16384
	ds_read_b128 v[52:55], v240 offset:26624
	ds_read_b128 v[48:51], v240 offset:36864
	ds_read_b128 v[44:47], v240 offset:47104
	ds_read_b128 v[40:43], v240 offset:57344
	ds_read_b128 v[20:23], v240 offset:8192
	ds_read_b128 v[36:39], v240 offset:18432
	ds_read_b128 v[32:35], v240 offset:28672
	ds_read_b128 v[28:31], v240 offset:38912
	ds_read_b128 v[24:27], v240 offset:49152
	ds_read_b128 v[146:149], v240 offset:59392
	scratch_load_dwordx4 v[0:3], off, off offset:728 ; 16-byte Folded Reload
	s_mov_b32 s2, 0x11111111
	s_mov_b32 s3, 0x3f311111
	s_waitcnt vmcnt(0) lgkmcnt(14)
	v_mul_f64 v[136:137], v[2:3], v[118:119]
	v_fmac_f64_e32 v[136:137], v[0:1], v[116:117]
	v_mul_f64 v[116:117], v[2:3], v[116:117]
	v_fma_f64 v[238:239], v[0:1], v[118:119], -v[116:117]
	scratch_load_dwordx4 v[0:3], off, off offset:712 ; 16-byte Folded Reload
	s_waitcnt vmcnt(0)
	v_mul_f64 v[128:129], v[2:3], v[114:115]
	v_fmac_f64_e32 v[128:129], v[0:1], v[112:113]
	v_mul_f64 v[112:113], v[2:3], v[112:113]
	v_fma_f64 v[138:139], v[0:1], v[114:115], -v[112:113]
	scratch_load_dwordx4 v[0:3], off, off offset:672 ; 16-byte Folded Reload
	s_waitcnt vmcnt(0)
	;; [unrolled: 6-line block ×4, first 2 shown]
	v_mul_f64 v[0:1], v[106:107], v[102:103]
	v_mul_f64 v[2:3], v[106:107], v[100:101]
	v_fmac_f64_e32 v[0:1], v[104:105], v[100:101]
	v_fma_f64 v[170:171], v[104:105], v[102:103], -v[2:3]
	scratch_load_dwordx4 v[100:103], off, off offset:1104 ; 16-byte Folded Reload
	s_waitcnt vmcnt(0)
	v_mul_f64 v[122:123], v[102:103], v[98:99]
	v_mul_f64 v[2:3], v[102:103], v[96:97]
	v_fmac_f64_e32 v[122:123], v[100:101], v[96:97]
	v_fma_f64 v[124:125], v[100:101], v[98:99], -v[2:3]
	scratch_load_dwordx4 v[96:99], off, off offset:1072 ; 16-byte Folded Reload
	s_waitcnt vmcnt(0)
	;; [unrolled: 6-line block ×3, first 2 shown]
	v_mul_f64 v[126:127], v[98:99], v[90:91]
	v_fmac_f64_e32 v[126:127], v[96:97], v[88:89]
	v_mul_f64 v[88:89], v[98:99], v[88:89]
	v_fma_f64 v[130:131], v[96:97], v[90:91], -v[88:89]
	scratch_load_dwordx4 v[88:91], off, off offset:992 ; 16-byte Folded Reload
	s_waitcnt vmcnt(0)
	v_mul_f64 v[108:109], v[90:91], v[86:87]
	v_fmac_f64_e32 v[108:109], v[88:89], v[84:85]
	v_mul_f64 v[84:85], v[90:91], v[84:85]
	v_fma_f64 v[2:3], v[88:89], v[86:87], -v[84:85]
	scratch_load_dwordx4 v[84:87], off, off offset:928 ; 16-byte Folded Reload
	s_waitcnt vmcnt(0)
	;; [unrolled: 6-line block ×5, first 2 shown]
	v_mul_f64 v[72:73], v[82:83], v[70:71]
	v_fmac_f64_e32 v[72:73], v[80:81], v[68:69]
	v_mul_f64 v[68:69], v[82:83], v[68:69]
	v_fma_f64 v[68:69], v[80:81], v[70:71], -v[68:69]
	scratch_load_dwordx4 v[80:83], off, off offset:912 ; 16-byte Folded Reload
	s_waitcnt vmcnt(0) lgkmcnt(13)
	v_mul_f64 v[70:71], v[82:83], v[66:67]
	v_fmac_f64_e32 v[70:71], v[80:81], v[64:65]
	v_mul_f64 v[64:65], v[82:83], v[64:65]
	v_fma_f64 v[66:67], v[80:81], v[66:67], -v[64:65]
	scratch_load_dwordx4 v[80:83], off, off offset:848 ; 16-byte Folded Reload
	s_waitcnt vmcnt(0) lgkmcnt(12)
	;; [unrolled: 6-line block ×11, first 2 shown]
	v_mul_f64 v[116:117], v[30:31], v[26:27]
	v_fmac_f64_e32 v[116:117], v[28:29], v[24:25]
	v_mul_f64 v[24:25], v[30:31], v[24:25]
	v_fma_f64 v[118:119], v[28:29], v[26:27], -v[24:25]
	scratch_load_dwordx4 v[26:29], off, off offset:800 ; 16-byte Folded Reload
	s_waitcnt lgkmcnt(0)
	s_barrier
	s_waitcnt vmcnt(0)
	v_mul_f64 v[104:105], v[28:29], v[148:149]
	v_mul_f64 v[24:25], v[28:29], v[146:147]
	v_fmac_f64_e32 v[104:105], v[26:27], v[146:147]
	v_fma_f64 v[146:147], v[26:27], v[148:149], -v[24:25]
	v_add_f64 v[24:25], v[16:17], v[128:129]
	v_add_f64 v[32:33], v[24:25], v[144:145]
	v_add_f64 v[24:25], v[128:129], v[144:145]
	v_fmac_f64_e32 v[16:17], -0.5, v[24:25]
	v_add_f64 v[24:25], v[138:139], -v[254:255]
	v_fma_f64 v[34:35], s[24:25], v[24:25], v[16:17]
	v_fmac_f64_e32 v[16:17], s[22:23], v[24:25]
	v_add_f64 v[24:25], v[18:19], v[138:139]
	v_add_f64 v[38:39], v[24:25], v[254:255]
	v_add_f64 v[24:25], v[138:139], v[254:255]
	v_fmac_f64_e32 v[18:19], -0.5, v[24:25]
	v_add_f64 v[24:25], v[128:129], -v[144:145]
	v_fma_f64 v[42:43], s[22:23], v[24:25], v[18:19]
	v_fmac_f64_e32 v[18:19], s[24:25], v[24:25]
	;; [unrolled: 7-line block ×4, first 2 shown]
	v_mul_f64 v[0:1], v[46:47], s[24:25]
	v_mul_f64 v[48:49], v[238:239], s[24:25]
	v_mul_f64 v[46:47], v[46:47], 0.5
	v_mul_f64 v[50:51], v[238:239], -0.5
	v_add_f64 v[24:25], v[32:33], v[36:37]
	v_fmac_f64_e32 v[0:1], 0.5, v[30:31]
	v_fmac_f64_e32 v[48:49], -0.5, v[136:137]
	v_add_f64 v[26:27], v[38:39], v[44:45]
	v_fmac_f64_e32 v[46:47], s[22:23], v[30:31]
	v_fmac_f64_e32 v[50:51], s[22:23], v[136:137]
	v_add_f64 v[138:139], v[34:35], v[0:1]
	v_add_f64 v[28:29], v[16:17], v[48:49]
	;; [unrolled: 1-line block ×4, first 2 shown]
	v_add_f64 v[36:37], v[32:33], -v[36:37]
	v_add_f64 v[32:33], v[34:35], -v[0:1]
	;; [unrolled: 1-line block ×6, first 2 shown]
	ds_write_b128 v175, v[24:27]
	ds_write_b128 v175, v[138:141] offset:160
	ds_write_b128 v175, v[28:31] offset:320
	;; [unrolled: 1-line block ×5, first 2 shown]
	scratch_load_dword v16, off, off offset:148 ; 4-byte Folded Reload
	v_add_f64 v[42:43], v[132:133], v[108:109]
	v_add_f64 v[0:1], v[12:13], v[132:133]
	v_fmac_f64_e32 v[12:13], -0.5, v[42:43]
	v_add_f64 v[42:43], v[94:95], -v[2:3]
	v_fma_f64 v[52:53], s[24:25], v[42:43], v[12:13]
	v_fmac_f64_e32 v[12:13], s[22:23], v[42:43]
	v_add_f64 v[42:43], v[14:15], v[94:95]
	v_add_f64 v[42:43], v[42:43], v[2:3]
	;; [unrolled: 1-line block ×3, first 2 shown]
	v_fmac_f64_e32 v[14:15], -0.5, v[2:3]
	v_add_f64 v[2:3], v[132:133], -v[108:109]
	v_add_f64 v[44:45], v[126:127], v[134:135]
	v_fma_f64 v[54:55], s[22:23], v[2:3], v[14:15]
	v_fmac_f64_e32 v[14:15], s[24:25], v[2:3]
	v_add_f64 v[2:3], v[122:123], v[126:127]
	v_fmac_f64_e32 v[122:123], -0.5, v[44:45]
	v_add_f64 v[44:45], v[130:131], -v[236:237]
	v_fma_f64 v[50:51], s[24:25], v[44:45], v[122:123]
	v_fmac_f64_e32 v[122:123], s[22:23], v[44:45]
	v_add_f64 v[44:45], v[124:125], v[130:131]
	v_add_f64 v[58:59], v[44:45], v[236:237]
	;; [unrolled: 1-line block ×3, first 2 shown]
	v_fmac_f64_e32 v[124:125], -0.5, v[44:45]
	v_add_f64 v[44:45], v[126:127], -v[134:135]
	v_fma_f64 v[56:57], s[22:23], v[44:45], v[124:125]
	v_add_f64 v[0:1], v[0:1], v[108:109]
	v_add_f64 v[2:3], v[2:3], v[134:135]
	v_mul_f64 v[62:63], v[56:57], s[24:25]
	v_fmac_f64_e32 v[124:125], s[24:25], v[44:45]
	v_add_f64 v[44:45], v[0:1], v[2:3]
	v_fmac_f64_e32 v[62:63], 0.5, v[50:51]
	v_mul_f64 v[108:109], v[56:57], 0.5
	v_add_f64 v[56:57], v[0:1], -v[2:3]
	v_add_f64 v[2:3], v[78:79], v[70:71]
	v_add_f64 v[126:127], v[52:53], v[62:63]
	v_add_f64 v[52:53], v[52:53], -v[62:63]
	v_add_f64 v[0:1], v[8:9], v[78:79]
	v_fmac_f64_e32 v[8:9], -0.5, v[2:3]
	v_add_f64 v[2:3], v[74:75], -v[66:67]
	v_add_f64 v[62:63], v[74:75], v[66:67]
	v_add_f64 v[46:47], v[42:43], v[58:59]
	v_add_f64 v[58:59], v[42:43], -v[58:59]
	v_fma_f64 v[42:43], s[24:25], v[2:3], v[8:9]
	v_fmac_f64_e32 v[8:9], s[22:23], v[2:3]
	v_add_f64 v[2:3], v[10:11], v[74:75]
	v_fmac_f64_e32 v[10:11], -0.5, v[62:63]
	v_add_f64 v[62:63], v[78:79], -v[70:71]
	v_fma_f64 v[74:75], s[22:23], v[62:63], v[10:11]
	v_fmac_f64_e32 v[10:11], s[24:25], v[62:63]
	v_add_f64 v[62:63], v[96:97], v[72:73]
	v_add_f64 v[78:79], v[62:63], v[64:65]
	;; [unrolled: 1-line block ×3, first 2 shown]
	v_mul_f64 v[94:95], v[124:125], s[24:25]
	v_fmac_f64_e32 v[96:97], -0.5, v[62:63]
	v_add_f64 v[62:63], v[68:69], -v[60:61]
	v_fmac_f64_e32 v[94:95], -0.5, v[122:123]
	v_add_f64 v[0:1], v[0:1], v[70:71]
	v_fma_f64 v[70:71], s[24:25], v[62:63], v[96:97]
	v_fmac_f64_e32 v[96:97], s[22:23], v[62:63]
	v_add_f64 v[62:63], v[76:77], v[68:69]
	v_add_f64 v[48:49], v[12:13], v[94:95]
	v_add_f64 v[12:13], v[12:13], -v[94:95]
	v_add_f64 v[94:95], v[62:63], v[60:61]
	v_add_f64 v[60:61], v[68:69], v[60:61]
	v_mul_f64 v[124:125], v[124:125], -0.5
	v_fmac_f64_e32 v[76:77], -0.5, v[60:61]
	v_add_f64 v[60:61], v[72:73], -v[64:65]
	v_fmac_f64_e32 v[108:109], s[22:23], v[50:51]
	v_fmac_f64_e32 v[124:125], s[22:23], v[122:123]
	v_fma_f64 v[62:63], s[22:23], v[60:61], v[76:77]
	v_fmac_f64_e32 v[76:77], s[24:25], v[60:61]
	v_add_f64 v[128:129], v[54:55], v[108:109]
	v_add_f64 v[50:51], v[14:15], v[124:125]
	v_add_f64 v[54:55], v[54:55], -v[108:109]
	v_add_f64 v[14:15], v[14:15], -v[124:125]
	v_mul_f64 v[72:73], v[62:63], s[24:25]
	v_mul_f64 v[108:109], v[76:77], s[24:25]
	v_mul_f64 v[122:123], v[62:63], 0.5
	v_mul_f64 v[124:125], v[76:77], -0.5
	v_add_f64 v[2:3], v[2:3], v[66:67]
	v_fmac_f64_e32 v[72:73], 0.5, v[70:71]
	v_fmac_f64_e32 v[108:109], -0.5, v[96:97]
	v_fmac_f64_e32 v[122:123], s[22:23], v[70:71]
	v_fmac_f64_e32 v[124:125], s[22:23], v[96:97]
	v_add_f64 v[64:65], v[0:1], v[78:79]
	v_add_f64 v[60:61], v[42:43], v[72:73]
	;; [unrolled: 1-line block ×6, first 2 shown]
	v_add_f64 v[76:77], v[0:1], -v[78:79]
	v_add_f64 v[72:73], v[42:43], -v[72:73]
	;; [unrolled: 1-line block ×6, first 2 shown]
	s_waitcnt vmcnt(0)
	ds_write_b128 v16, v[44:47]
	ds_write_b128 v16, v[126:129] offset:160
	ds_write_b128 v16, v[48:51] offset:320
	ds_write_b128 v16, v[56:59] offset:480
	ds_write_b128 v16, v[52:55] offset:640
	ds_write_b128 v16, v[12:15] offset:800
	ds_write_b128 v234, v[64:67]
	ds_write_b128 v234, v[60:63] offset:160
	ds_write_b128 v234, v[68:71] offset:320
	;; [unrolled: 1-line block ×5, first 2 shown]
	scratch_load_dword v8, off, off offset:56 ; 4-byte Folded Reload
	v_add_f64 v[2:3], v[84:85], v[98:99]
	v_add_f64 v[0:1], v[4:5], v[84:85]
	v_fmac_f64_e32 v[4:5], -0.5, v[2:3]
	v_add_f64 v[2:3], v[88:89], -v[120:121]
	v_fma_f64 v[42:43], s[24:25], v[2:3], v[4:5]
	v_fmac_f64_e32 v[4:5], s[22:23], v[2:3]
	v_add_f64 v[2:3], v[6:7], v[88:89]
	v_add_f64 v[88:89], v[88:89], v[120:121]
	v_fmac_f64_e32 v[6:7], -0.5, v[88:89]
	v_add_f64 v[84:85], v[84:85], -v[98:99]
	v_fma_f64 v[94:95], s[22:23], v[84:85], v[6:7]
	v_fmac_f64_e32 v[6:7], s[24:25], v[84:85]
	v_add_f64 v[84:85], v[90:91], v[80:81]
	v_add_f64 v[96:97], v[84:85], v[86:87]
	;; [unrolled: 1-line block ×3, first 2 shown]
	v_fmac_f64_e32 v[90:91], -0.5, v[84:85]
	v_add_f64 v[84:85], v[82:83], -v[40:41]
	v_add_f64 v[0:1], v[0:1], v[98:99]
	v_fma_f64 v[98:99], s[24:25], v[84:85], v[90:91]
	v_fmac_f64_e32 v[90:91], s[22:23], v[84:85]
	v_add_f64 v[84:85], v[92:93], v[82:83]
	v_add_f64 v[108:109], v[84:85], v[40:41]
	v_add_f64 v[40:41], v[82:83], v[40:41]
	v_fmac_f64_e32 v[92:93], -0.5, v[40:41]
	v_add_f64 v[40:41], v[80:81], -v[86:87]
	v_fma_f64 v[82:83], s[22:23], v[40:41], v[92:93]
	v_fmac_f64_e32 v[92:93], s[24:25], v[40:41]
	v_add_f64 v[2:3], v[2:3], v[120:121]
	v_mul_f64 v[40:41], v[82:83], s[24:25]
	v_mul_f64 v[120:121], v[92:93], s[24:25]
	v_mul_f64 v[122:123], v[82:83], 0.5
	v_mul_f64 v[124:125], v[92:93], -0.5
	v_add_f64 v[84:85], v[0:1], v[96:97]
	v_fmac_f64_e32 v[40:41], 0.5, v[98:99]
	v_fmac_f64_e32 v[120:121], -0.5, v[90:91]
	v_add_f64 v[86:87], v[2:3], v[108:109]
	v_fmac_f64_e32 v[122:123], s[22:23], v[98:99]
	v_fmac_f64_e32 v[124:125], s[22:23], v[90:91]
	v_add_f64 v[80:81], v[42:43], v[40:41]
	v_add_f64 v[88:89], v[4:5], v[120:121]
	;; [unrolled: 1-line block ×4, first 2 shown]
	v_add_f64 v[96:97], v[0:1], -v[96:97]
	v_add_f64 v[92:93], v[42:43], -v[40:41]
	;; [unrolled: 1-line block ×6, first 2 shown]
	s_waitcnt vmcnt(0)
	ds_write_b128 v8, v[84:87]
	ds_write_b128 v8, v[80:83] offset:160
	ds_write_b128 v8, v[88:91] offset:320
	;; [unrolled: 1-line block ×5, first 2 shown]
	scratch_load_dword v4, off, off offset:52 ; 4-byte Folded Reload
	v_add_f64 v[2:3], v[106:107], v[116:117]
	v_add_f64 v[0:1], v[20:21], v[106:107]
	v_fmac_f64_e32 v[20:21], -0.5, v[2:3]
	v_add_f64 v[2:3], v[114:115], -v[118:119]
	v_add_f64 v[42:43], v[114:115], v[118:119]
	v_fma_f64 v[40:41], s[24:25], v[2:3], v[20:21]
	v_fmac_f64_e32 v[20:21], s[22:23], v[2:3]
	v_add_f64 v[2:3], v[22:23], v[114:115]
	v_fmac_f64_e32 v[22:23], -0.5, v[42:43]
	v_add_f64 v[42:43], v[106:107], -v[116:117]
	v_add_f64 v[106:107], v[100:101], v[104:105]
	v_fma_f64 v[114:115], s[22:23], v[42:43], v[22:23]
	v_fmac_f64_e32 v[22:23], s[24:25], v[42:43]
	;; [unrolled: 6-line block ×3, first 2 shown]
	v_add_f64 v[106:107], v[112:113], v[102:103]
	v_add_f64 v[102:103], v[102:103], v[146:147]
	v_fmac_f64_e32 v[112:113], -0.5, v[102:103]
	v_add_f64 v[100:101], v[100:101], -v[104:105]
	v_fma_f64 v[102:103], s[22:23], v[100:101], v[112:113]
	v_fmac_f64_e32 v[112:113], s[24:25], v[100:101]
	v_mul_f64 v[120:121], v[102:103], s[24:25]
	v_mul_f64 v[122:123], v[112:113], s[24:25]
	v_mul_f64 v[124:125], v[102:103], 0.5
	v_mul_f64 v[130:131], v[112:113], -0.5
	v_add_f64 v[2:3], v[2:3], v[118:119]
	v_add_f64 v[42:43], v[42:43], v[104:105]
	;; [unrolled: 1-line block ×3, first 2 shown]
	v_fmac_f64_e32 v[120:121], 0.5, v[116:117]
	v_fmac_f64_e32 v[122:123], -0.5, v[110:111]
	v_fmac_f64_e32 v[124:125], s[22:23], v[116:117]
	v_fmac_f64_e32 v[130:131], s[22:23], v[110:111]
	v_add_f64 v[104:105], v[0:1], v[42:43]
	v_add_f64 v[100:101], v[40:41], v[120:121]
	;; [unrolled: 1-line block ×6, first 2 shown]
	v_add_f64 v[116:117], v[0:1], -v[42:43]
	v_add_f64 v[112:113], v[40:41], -v[120:121]
	;; [unrolled: 1-line block ×6, first 2 shown]
	s_waitcnt vmcnt(0)
	ds_write_b128 v4, v[104:107]
	ds_write_b128 v4, v[100:103] offset:160
	ds_write_b128 v4, v[108:111] offset:320
	;; [unrolled: 1-line block ×5, first 2 shown]
	s_waitcnt lgkmcnt(0)
	s_barrier
	ds_read_b128 v[36:39], v240
	ds_read_b128 v[116:119], v240 offset:30720
	ds_read_b128 v[56:59], v240 offset:2048
	;; [unrolled: 1-line block ×29, first 2 shown]
	scratch_load_dwordx4 v[122:125], off, off offset:1120 ; 16-byte Folded Reload
	s_waitcnt vmcnt(0) lgkmcnt(14)
	v_mul_f64 v[120:121], v[124:125], v[118:119]
	v_fmac_f64_e32 v[120:121], v[122:123], v[116:117]
	v_mul_f64 v[116:117], v[124:125], v[116:117]
	scratch_load_dwordx4 v[124:127], off, off offset:1136 ; 16-byte Folded Reload
	v_fma_f64 v[116:117], v[122:123], v[118:119], -v[116:117]
	s_waitcnt vmcnt(0)
	v_mul_f64 v[122:123], v[126:127], v[114:115]
	v_fmac_f64_e32 v[122:123], v[124:125], v[112:113]
	v_mul_f64 v[112:113], v[126:127], v[112:113]
	v_fma_f64 v[124:125], v[124:125], v[114:115], -v[112:113]
	scratch_load_dwordx4 v[112:115], off, off offset:1152 ; 16-byte Folded Reload
	s_waitcnt vmcnt(0)
	v_mul_f64 v[126:127], v[114:115], v[110:111]
	v_fmac_f64_e32 v[126:127], v[112:113], v[108:109]
	v_mul_f64 v[108:109], v[114:115], v[108:109]
	v_fma_f64 v[128:129], v[112:113], v[110:111], -v[108:109]
	scratch_load_dwordx4 v[108:111], off, off offset:1168 ; 16-byte Folded Reload
	v_add_f64 v[112:113], v[36:37], -v[120:121]
	v_add_f64 v[114:115], v[38:39], -v[116:117]
	v_fma_f64 v[116:117], v[36:37], 2.0, -v[112:113]
	v_fma_f64 v[118:119], v[38:39], 2.0, -v[114:115]
	s_waitcnt vmcnt(0)
	v_mul_f64 v[130:131], v[110:111], v[106:107]
	v_fmac_f64_e32 v[130:131], v[108:109], v[104:105]
	v_mul_f64 v[104:105], v[110:111], v[104:105]
	v_fma_f64 v[132:133], v[108:109], v[106:107], -v[104:105]
	scratch_load_dwordx4 v[104:107], off, off offset:1184 ; 16-byte Folded Reload
	s_waitcnt vmcnt(0)
	v_mul_f64 v[134:135], v[106:107], v[102:103]
	v_fmac_f64_e32 v[134:135], v[104:105], v[100:101]
	v_mul_f64 v[100:101], v[106:107], v[100:101]
	v_fma_f64 v[136:137], v[104:105], v[102:103], -v[100:101]
	scratch_load_dwordx4 v[100:103], off, off offset:1200 ; 16-byte Folded Reload
	v_add_f64 v[104:105], v[56:57], -v[122:123]
	v_add_f64 v[106:107], v[58:59], -v[124:125]
	v_fma_f64 v[108:109], v[56:57], 2.0, -v[104:105]
	v_fma_f64 v[110:111], v[58:59], 2.0, -v[106:107]
	s_waitcnt vmcnt(0)
	v_mul_f64 v[138:139], v[102:103], v[98:99]
	v_fmac_f64_e32 v[138:139], v[100:101], v[96:97]
	v_mul_f64 v[96:97], v[102:103], v[96:97]
	v_fma_f64 v[140:141], v[100:101], v[98:99], -v[96:97]
	scratch_load_dwordx4 v[96:99], off, off offset:1216 ; 16-byte Folded Reload
	s_waitcnt lgkmcnt(0)
	s_barrier
	s_waitcnt vmcnt(0)
	v_mul_f64 v[142:143], v[98:99], v[94:95]
	v_fmac_f64_e32 v[142:143], v[96:97], v[92:93]
	v_mul_f64 v[92:93], v[98:99], v[92:93]
	v_fma_f64 v[144:145], v[96:97], v[94:95], -v[92:93]
	v_accvgpr_read_b32 v92, a248
	v_accvgpr_read_b32 v94, a250
	v_accvgpr_read_b32 v95, a251
	v_accvgpr_read_b32 v93, a249
	v_mul_f64 v[146:147], v[94:95], v[90:91]
	v_fmac_f64_e32 v[146:147], v[92:93], v[88:89]
	v_mul_f64 v[88:89], v[94:95], v[88:89]
	v_fma_f64 v[148:149], v[92:93], v[90:91], -v[88:89]
	v_accvgpr_read_b32 v88, a244
	v_accvgpr_read_b32 v90, a246
	v_accvgpr_read_b32 v91, a247
	v_accvgpr_read_b32 v89, a245
	v_mul_f64 v[170:171], v[90:91], v[86:87]
	v_fmac_f64_e32 v[170:171], v[88:89], v[84:85]
	v_mul_f64 v[84:85], v[90:91], v[84:85]
	v_fma_f64 v[174:175], v[88:89], v[86:87], -v[84:85]
	v_accvgpr_read_b32 v84, a232
	v_accvgpr_read_b32 v86, a234
	v_accvgpr_read_b32 v87, a235
	v_accvgpr_read_b32 v85, a233
	v_mul_f64 v[234:235], v[86:87], v[82:83]
	v_fmac_f64_e32 v[234:235], v[84:85], v[80:81]
	v_mul_f64 v[80:81], v[86:87], v[80:81]
	v_fma_f64 v[236:237], v[84:85], v[82:83], -v[80:81]
	v_accvgpr_read_b32 v80, a228
	v_accvgpr_read_b32 v82, a230
	v_accvgpr_read_b32 v83, a231
	v_accvgpr_read_b32 v81, a229
	v_mul_f64 v[238:239], v[82:83], v[78:79]
	v_fmac_f64_e32 v[238:239], v[80:81], v[76:77]
	v_mul_f64 v[76:77], v[82:83], v[76:77]
	v_fma_f64 v[254:255], v[80:81], v[78:79], -v[76:77]
	v_accvgpr_read_b32 v78, a216
	v_accvgpr_read_b32 v80, a218
	v_accvgpr_read_b32 v81, a219
	v_accvgpr_read_b32 v79, a217
	v_mul_f64 v[76:77], v[80:81], v[74:75]
	v_fmac_f64_e32 v[76:77], v[78:79], v[72:73]
	v_mul_f64 v[72:73], v[80:81], v[72:73]
	v_fma_f64 v[78:79], v[78:79], v[74:75], -v[72:73]
	v_accvgpr_read_b32 v72, a212
	v_accvgpr_read_b32 v74, a214
	v_accvgpr_read_b32 v75, a215
	v_accvgpr_read_b32 v73, a213
	v_mul_f64 v[84:85], v[74:75], v[70:71]
	v_fmac_f64_e32 v[84:85], v[72:73], v[68:69]
	v_mul_f64 v[68:69], v[74:75], v[68:69]
	v_fma_f64 v[86:87], v[72:73], v[70:71], -v[68:69]
	v_accvgpr_read_b32 v70, a192
	v_accvgpr_read_b32 v72, a194
	v_accvgpr_read_b32 v73, a195
	v_accvgpr_read_b32 v71, a193
	v_mul_f64 v[68:69], v[72:73], v[66:67]
	v_fmac_f64_e32 v[68:69], v[70:71], v[64:65]
	v_mul_f64 v[64:65], v[72:73], v[64:65]
	v_accvgpr_read_b32 v72, a188
	v_accvgpr_read_b32 v74, a190
	;; [unrolled: 1-line block ×3, first 2 shown]
	v_fma_f64 v[70:71], v[70:71], v[66:67], -v[64:65]
	v_accvgpr_read_b32 v73, a189
	v_mul_f64 v[64:65], v[74:75], v[62:63]
	v_fmac_f64_e32 v[64:65], v[72:73], v[60:61]
	v_mul_f64 v[60:61], v[74:75], v[60:61]
	v_add_f64 v[90:91], v[50:51], -v[132:133]
	v_add_f64 v[132:133], v[32:33], -v[142:143]
	v_fma_f64 v[66:67], v[72:73], v[62:63], -v[60:61]
	v_add_f64 v[98:99], v[54:55], -v[128:129]
	v_add_f64 v[88:89], v[48:49], -v[130:131]
	;; [unrolled: 1-line block ×3, first 2 shown]
	v_fma_f64 v[128:129], v[32:33], 2.0, -v[132:133]
	v_add_f64 v[32:33], v[16:17], -v[238:239]
	v_add_f64 v[96:97], v[52:53], -v[126:127]
	v_fma_f64 v[92:93], v[48:49], 2.0, -v[88:89]
	v_add_f64 v[80:81], v[44:45], -v[134:135]
	v_fma_f64 v[120:121], v[40:41], 2.0, -v[72:73]
	v_add_f64 v[48:49], v[24:25], -v[170:171]
	v_add_f64 v[40:41], v[20:21], -v[234:235]
	v_fma_f64 v[36:37], v[16:17], 2.0, -v[32:33]
	v_add_f64 v[16:17], v[8:9], -v[84:85]
	v_fma_f64 v[100:101], v[52:53], 2.0, -v[96:97]
	v_fma_f64 v[124:125], v[44:45], 2.0, -v[80:81]
	v_add_f64 v[56:57], v[28:29], -v[146:147]
	v_fma_f64 v[52:53], v[24:25], 2.0, -v[48:49]
	;; [unrolled: 3-line block ×3, first 2 shown]
	v_add_f64 v[8:9], v[0:1], -v[68:69]
	v_fma_f64 v[60:61], v[28:29], 2.0, -v[56:57]
	v_fma_f64 v[28:29], v[12:13], 2.0, -v[24:25]
	;; [unrolled: 1-line block ×3, first 2 shown]
	v_add_f64 v[0:1], v[4:5], -v[64:65]
	scratch_load_dword v64, off, off offset:612 ; 4-byte Folded Reload
	s_waitcnt vmcnt(0)
	ds_write_b128 v64, v[116:119]
	ds_write_b128 v64, v[112:115] offset:960
	scratch_load_dword v64, off, off offset:604 ; 4-byte Folded Reload
	s_waitcnt vmcnt(0)
	ds_write_b128 v64, v[108:111]
	ds_write_b128 v64, v[104:107] offset:960
	scratch_load_dword v64, off, off offset:600 ; 4-byte Folded Reload
	v_fma_f64 v[102:103], v[54:55], 2.0, -v[98:99]
	s_waitcnt vmcnt(0)
	ds_write_b128 v64, v[100:103]
	ds_write_b128 v64, v[96:99] offset:960
	scratch_load_dword v64, off, off offset:596 ; 4-byte Folded Reload
	v_fma_f64 v[94:95], v[50:51], 2.0, -v[90:91]
	s_waitcnt vmcnt(0)
	ds_write_b128 v64, v[92:95]
	ds_write_b128 v64, v[88:91] offset:960
	scratch_load_dword v64, off, off offset:560 ; 4-byte Folded Reload
	v_add_f64 v[82:83], v[46:47], -v[136:137]
	v_fma_f64 v[126:127], v[46:47], 2.0, -v[82:83]
	s_waitcnt vmcnt(0)
	ds_write_b128 v64, v[124:127]
	ds_write_b128 v64, v[80:83] offset:960
	scratch_load_dword v64, off, off offset:492 ; 4-byte Folded Reload
	v_add_f64 v[74:75], v[42:43], -v[140:141]
	;; [unrolled: 6-line block ×11, first 2 shown]
	v_accvgpr_read_b32 v122, a252
	v_fma_f64 v[4:5], v[4:5], 2.0, -v[0:1]
	v_fma_f64 v[6:7], v[6:7], 2.0, -v[2:3]
	v_accvgpr_read_b32 v124, a254
	v_accvgpr_read_b32 v125, a255
	s_waitcnt vmcnt(0)
	ds_write_b128 v8, v[4:7]
	ds_write_b128 v8, v[0:3] offset:960
	s_waitcnt lgkmcnt(0)
	s_barrier
	ds_read_b128 v[36:39], v240
	ds_read_b128 v[116:119], v240 offset:30720
	ds_read_b128 v[56:59], v240 offset:2048
	;; [unrolled: 1-line block ×29, first 2 shown]
	v_accvgpr_read_b32 v123, a253
	s_waitcnt lgkmcnt(14)
	v_mul_f64 v[120:121], v[124:125], v[118:119]
	v_fmac_f64_e32 v[120:121], v[122:123], v[116:117]
	v_mul_f64 v[116:117], v[124:125], v[116:117]
	v_accvgpr_read_b32 v124, a240
	v_accvgpr_read_b32 v126, a242
	;; [unrolled: 1-line block ×3, first 2 shown]
	v_fma_f64 v[116:117], v[122:123], v[118:119], -v[116:117]
	v_accvgpr_read_b32 v125, a241
	v_mul_f64 v[122:123], v[126:127], v[114:115]
	v_fmac_f64_e32 v[122:123], v[124:125], v[112:113]
	v_mul_f64 v[112:113], v[126:127], v[112:113]
	v_fma_f64 v[124:125], v[124:125], v[114:115], -v[112:113]
	v_accvgpr_read_b32 v112, a236
	v_accvgpr_read_b32 v114, a238
	v_accvgpr_read_b32 v115, a239
	v_accvgpr_read_b32 v113, a237
	v_mul_f64 v[126:127], v[114:115], v[110:111]
	v_fmac_f64_e32 v[126:127], v[112:113], v[108:109]
	v_mul_f64 v[108:109], v[114:115], v[108:109]
	v_fma_f64 v[128:129], v[112:113], v[110:111], -v[108:109]
	v_accvgpr_read_b32 v108, a224
	v_accvgpr_read_b32 v110, a226
	v_accvgpr_read_b32 v111, a227
	;; [unrolled: 8-line block ×7, first 2 shown]
	v_accvgpr_read_b32 v89, a181
	s_waitcnt lgkmcnt(12)
	v_mul_f64 v[170:171], v[90:91], v[86:87]
	v_fmac_f64_e32 v[170:171], v[88:89], v[84:85]
	v_mul_f64 v[84:85], v[90:91], v[84:85]
	v_fma_f64 v[174:175], v[88:89], v[86:87], -v[84:85]
	v_accvgpr_read_b32 v84, a172
	v_accvgpr_read_b32 v86, a174
	v_accvgpr_read_b32 v87, a175
	v_accvgpr_read_b32 v85, a173
	s_waitcnt lgkmcnt(10)
	v_mul_f64 v[234:235], v[86:87], v[82:83]
	v_fmac_f64_e32 v[234:235], v[84:85], v[80:81]
	v_mul_f64 v[80:81], v[86:87], v[80:81]
	v_fma_f64 v[236:237], v[84:85], v[82:83], -v[80:81]
	v_accvgpr_read_b32 v80, a168
	v_accvgpr_read_b32 v82, a170
	v_accvgpr_read_b32 v83, a171
	;; [unrolled: 9-line block ×5, first 2 shown]
	v_accvgpr_read_b32 v71, a125
	s_waitcnt lgkmcnt(2)
	v_mul_f64 v[68:69], v[72:73], v[66:67]
	v_fmac_f64_e32 v[68:69], v[70:71], v[64:65]
	v_mul_f64 v[64:65], v[72:73], v[64:65]
	v_accvgpr_read_b32 v72, a120
	v_accvgpr_read_b32 v74, a122
	;; [unrolled: 1-line block ×3, first 2 shown]
	v_fma_f64 v[70:71], v[70:71], v[66:67], -v[64:65]
	v_accvgpr_read_b32 v73, a121
	s_waitcnt lgkmcnt(0)
	v_mul_f64 v[64:65], v[74:75], v[62:63]
	v_fmac_f64_e32 v[64:65], v[72:73], v[60:61]
	v_mul_f64 v[60:61], v[74:75], v[60:61]
	v_add_f64 v[90:91], v[50:51], -v[132:133]
	v_add_f64 v[132:133], v[32:33], -v[142:143]
	v_fma_f64 v[66:67], v[72:73], v[62:63], -v[60:61]
	v_add_f64 v[112:113], v[36:37], -v[120:121]
	v_add_f64 v[98:99], v[54:55], -v[128:129]
	;; [unrolled: 1-line block ×4, first 2 shown]
	v_fma_f64 v[128:129], v[32:33], 2.0, -v[132:133]
	v_add_f64 v[32:33], v[16:17], -v[238:239]
	v_add_f64 v[114:115], v[38:39], -v[116:117]
	v_fma_f64 v[116:117], v[36:37], 2.0, -v[112:113]
	v_add_f64 v[104:105], v[56:57], -v[122:123]
	v_add_f64 v[96:97], v[52:53], -v[126:127]
	v_fma_f64 v[92:93], v[48:49], 2.0, -v[88:89]
	v_add_f64 v[80:81], v[44:45], -v[134:135]
	v_fma_f64 v[120:121], v[40:41], 2.0, -v[72:73]
	v_add_f64 v[48:49], v[24:25], -v[170:171]
	v_add_f64 v[40:41], v[20:21], -v[234:235]
	v_fma_f64 v[36:37], v[16:17], 2.0, -v[32:33]
	v_add_f64 v[16:17], v[8:9], -v[84:85]
	v_add_f64 v[106:107], v[58:59], -v[124:125]
	v_fma_f64 v[108:109], v[56:57], 2.0, -v[104:105]
	v_fma_f64 v[100:101], v[52:53], 2.0, -v[96:97]
	;; [unrolled: 1-line block ×3, first 2 shown]
	v_add_f64 v[56:57], v[28:29], -v[146:147]
	v_fma_f64 v[52:53], v[24:25], 2.0, -v[48:49]
	v_fma_f64 v[44:45], v[20:21], 2.0, -v[40:41]
	v_add_f64 v[24:25], v[12:13], -v[76:77]
	v_fma_f64 v[20:21], v[8:9], 2.0, -v[16:17]
	v_add_f64 v[8:9], v[0:1], -v[68:69]
	v_fma_f64 v[60:61], v[28:29], 2.0, -v[56:57]
	v_fma_f64 v[28:29], v[12:13], 2.0, -v[24:25]
	;; [unrolled: 1-line block ×3, first 2 shown]
	v_add_f64 v[0:1], v[4:5], -v[64:65]
	s_barrier
	scratch_load_dword v64, off, off offset:744 ; 4-byte Folded Reload
	v_fma_f64 v[118:119], v[38:39], 2.0, -v[114:115]
	s_waitcnt vmcnt(0)
	ds_write_b128 v64, v[116:119]
	ds_write_b128 v64, v[112:115] offset:1920
	scratch_load_dword v64, off, off offset:708 ; 4-byte Folded Reload
	v_fma_f64 v[110:111], v[58:59], 2.0, -v[106:107]
	s_waitcnt vmcnt(0)
	ds_write_b128 v64, v[108:111]
	ds_write_b128 v64, v[104:107] offset:1920
	;; [unrolled: 5-line block ×4, first 2 shown]
	scratch_load_dword v64, off, off offset:636 ; 4-byte Folded Reload
	v_add_f64 v[82:83], v[46:47], -v[136:137]
	v_fma_f64 v[126:127], v[46:47], 2.0, -v[82:83]
	s_waitcnt vmcnt(0)
	ds_write_b128 v64, v[124:127]
	ds_write_b128 v64, v[80:83] offset:1920
	scratch_load_dword v64, off, off offset:704 ; 4-byte Folded Reload
	v_add_f64 v[74:75], v[42:43], -v[140:141]
	v_fma_f64 v[122:123], v[42:43], 2.0, -v[74:75]
	s_waitcnt vmcnt(0)
	ds_write_b128 v64, v[120:123]
	ds_write_b128 v64, v[72:75] offset:1920
	;; [unrolled: 6-line block ×10, first 2 shown]
	scratch_load_dword v8, off, off offset:616 ; 4-byte Folded Reload
	v_add_f64 v[2:3], v[6:7], -v[66:67]
	v_accvgpr_read_b32 v122, a204
	v_fma_f64 v[4:5], v[4:5], 2.0, -v[0:1]
	v_fma_f64 v[6:7], v[6:7], 2.0, -v[2:3]
	v_accvgpr_read_b32 v124, a206
	v_accvgpr_read_b32 v125, a207
	s_waitcnt vmcnt(0)
	ds_write_b128 v8, v[4:7]
	ds_write_b128 v8, v[0:3] offset:1920
	s_waitcnt lgkmcnt(0)
	s_barrier
	ds_read_b128 v[56:59], v240
	ds_read_b128 v[116:119], v240 offset:30720
	ds_read_b128 v[52:55], v240 offset:2048
	;; [unrolled: 1-line block ×29, first 2 shown]
	v_accvgpr_read_b32 v123, a205
	s_waitcnt lgkmcnt(14)
	v_mul_f64 v[120:121], v[124:125], v[118:119]
	v_fmac_f64_e32 v[120:121], v[122:123], v[116:117]
	v_mul_f64 v[116:117], v[124:125], v[116:117]
	v_fma_f64 v[116:117], v[122:123], v[118:119], -v[116:117]
	v_accvgpr_read_b32 v122, a196
	v_accvgpr_read_b32 v124, a198
	v_accvgpr_read_b32 v125, a199
	v_accvgpr_read_b32 v123, a197
	v_mul_f64 v[118:119], v[124:125], v[114:115]
	v_fmac_f64_e32 v[118:119], v[122:123], v[112:113]
	v_mul_f64 v[112:113], v[124:125], v[112:113]
	v_fma_f64 v[122:123], v[122:123], v[114:115], -v[112:113]
	v_accvgpr_read_b32 v112, a176
	v_accvgpr_read_b32 v114, a178
	v_accvgpr_read_b32 v115, a179
	v_accvgpr_read_b32 v113, a177
	;; [unrolled: 8-line block ×8, first 2 shown]
	s_waitcnt lgkmcnt(12)
	v_mul_f64 v[148:149], v[90:91], v[86:87]
	v_fmac_f64_e32 v[148:149], v[88:89], v[84:85]
	v_mul_f64 v[84:85], v[90:91], v[84:85]
	v_fma_f64 v[170:171], v[88:89], v[86:87], -v[84:85]
	v_accvgpr_read_b32 v84, a104
	v_accvgpr_read_b32 v86, a106
	v_accvgpr_read_b32 v87, a107
	v_accvgpr_read_b32 v85, a105
	s_waitcnt lgkmcnt(10)
	v_mul_f64 v[174:175], v[86:87], v[82:83]
	v_fmac_f64_e32 v[174:175], v[84:85], v[80:81]
	v_mul_f64 v[80:81], v[86:87], v[80:81]
	v_fma_f64 v[234:235], v[84:85], v[82:83], -v[80:81]
	v_accvgpr_read_b32 v80, a100
	v_accvgpr_read_b32 v82, a102
	v_accvgpr_read_b32 v83, a103
	v_accvgpr_read_b32 v81, a101
	;; [unrolled: 9-line block ×6, first 2 shown]
	s_waitcnt lgkmcnt(0)
	v_mul_f64 v[86:87], v[66:67], v[62:63]
	v_fmac_f64_e32 v[86:87], v[64:65], v[60:61]
	v_mul_f64 v[60:61], v[66:67], v[60:61]
	v_add_f64 v[66:67], v[34:35], -v[142:143]
	v_add_f64 v[104:105], v[56:57], -v[120:121]
	;; [unrolled: 1-line block ×6, first 2 shown]
	v_fma_f64 v[126:127], v[34:35], 2.0, -v[66:67]
	v_add_f64 v[34:35], v[18:19], -v[238:239]
	v_fma_f64 v[112:113], v[56:57], 2.0, -v[104:105]
	v_fma_f64 v[114:115], v[58:59], 2.0, -v[106:107]
	v_add_f64 v[110:111], v[54:55], -v[122:123]
	v_fma_f64 v[102:103], v[50:51], 2.0, -v[94:95]
	v_add_f64 v[90:91], v[46:47], -v[130:131]
	v_fma_f64 v[130:131], v[42:43], 2.0, -v[82:83]
	v_fma_f64 v[122:123], v[38:39], 2.0, -v[74:75]
	v_add_f64 v[50:51], v[26:27], -v[170:171]
	v_add_f64 v[42:43], v[22:23], -v[234:235]
	v_fma_f64 v[38:39], v[18:19], 2.0, -v[34:35]
	v_add_f64 v[18:19], v[10:11], -v[68:69]
	v_fma_f64 v[60:61], v[64:65], v[62:63], -v[60:61]
	v_add_f64 v[108:109], v[52:53], -v[118:119]
	v_fma_f64 v[118:119], v[54:55], 2.0, -v[110:111]
	v_fma_f64 v[98:99], v[46:47], 2.0, -v[90:91]
	v_add_f64 v[58:59], v[30:31], -v[146:147]
	v_fma_f64 v[54:55], v[26:27], 2.0, -v[50:51]
	v_fma_f64 v[46:47], v[22:23], 2.0, -v[42:43]
	v_add_f64 v[26:27], v[14:15], -v[76:77]
	v_fma_f64 v[22:23], v[10:11], 2.0, -v[18:19]
	v_add_f64 v[10:11], v[2:3], -v[84:85]
	s_barrier
	ds_write_b128 v240, v[112:115]
	ds_write_b128 v240, v[104:107] offset:3840
	v_fma_f64 v[134:135], v[30:31], 2.0, -v[58:59]
	v_fma_f64 v[30:31], v[14:15], 2.0, -v[26:27]
	;; [unrolled: 1-line block ×3, first 2 shown]
	v_add_f64 v[2:3], v[6:7], -v[60:61]
	scratch_load_dword v60, off, off offset:908 ; 4-byte Folded Reload
	v_fma_f64 v[116:117], v[52:53], 2.0, -v[108:109]
	v_add_f64 v[92:93], v[48:49], -v[124:125]
	v_fma_f64 v[100:101], v[48:49], 2.0, -v[92:93]
	s_waitcnt vmcnt(0)
	ds_write_b128 v60, v[116:119]
	ds_write_b128 v60, v[108:111] offset:3840
	ds_write_b128 v240, v[100:103] offset:7936
	;; [unrolled: 1-line block ×3, first 2 shown]
	scratch_load_dword v60, off, off offset:904 ; 4-byte Folded Reload
	v_add_f64 v[88:89], v[44:45], -v[128:129]
	v_fma_f64 v[96:97], v[44:45], 2.0, -v[88:89]
	s_waitcnt vmcnt(0)
	ds_write_b128 v60, v[96:99]
	ds_write_b128 v60, v[88:91] offset:3840
	scratch_load_dword v60, off, off offset:900 ; 4-byte Folded Reload
	v_add_f64 v[80:81], v[40:41], -v[132:133]
	v_fma_f64 v[128:129], v[40:41], 2.0, -v[80:81]
	s_waitcnt vmcnt(0)
	ds_write_b128 v60, v[128:131] offset:15360
	ds_write_b128 v60, v[80:83] offset:19200
	scratch_load_dword v60, off, off offset:896 ; 4-byte Folded Reload
	v_add_f64 v[72:73], v[36:37], -v[136:137]
	v_fma_f64 v[120:121], v[36:37], 2.0, -v[72:73]
	s_waitcnt vmcnt(0)
	ds_write_b128 v60, v[120:123]
	ds_write_b128 v60, v[72:75] offset:3840
	scratch_load_dword v60, off, off offset:796 ; 4-byte Folded Reload
	v_add_f64 v[64:65], v[32:33], -v[140:141]
	v_fma_f64 v[124:125], v[32:33], 2.0, -v[64:65]
	s_waitcnt vmcnt(0)
	ds_write_b128 v60, v[124:127] offset:23040
	ds_write_b128 v60, v[64:67] offset:26880
	;; [unrolled: 12-line block ×5, first 2 shown]
	scratch_load_dword v16, off, off offset:748 ; 4-byte Folded Reload
	v_add_f64 v[8:9], v[0:1], -v[70:71]
	v_fma_f64 v[12:13], v[0:1], 2.0, -v[8:9]
	v_add_f64 v[0:1], v[4:5], -v[86:87]
	v_accvgpr_read_b32 v122, a148
	v_fma_f64 v[4:5], v[4:5], 2.0, -v[0:1]
	v_fma_f64 v[6:7], v[6:7], 2.0, -v[2:3]
	v_accvgpr_read_b32 v124, a150
	v_accvgpr_read_b32 v125, a151
	s_waitcnt vmcnt(0)
	ds_write_b128 v16, v[12:15]
	ds_write_b128 v16, v[8:11] offset:3840
	ds_write_b128 v241, v[4:7] offset:53760
	ds_write_b128 v241, v[0:3] offset:57600
	s_waitcnt lgkmcnt(0)
	s_barrier
	ds_read_b128 v[56:59], v240
	ds_read_b128 v[116:119], v240 offset:30720
	ds_read_b128 v[52:55], v240 offset:2048
	;; [unrolled: 1-line block ×29, first 2 shown]
	v_accvgpr_read_b32 v123, a149
	s_waitcnt lgkmcnt(14)
	v_mul_f64 v[120:121], v[124:125], v[118:119]
	v_fmac_f64_e32 v[120:121], v[122:123], v[116:117]
	v_mul_f64 v[116:117], v[124:125], v[116:117]
	v_fma_f64 v[116:117], v[122:123], v[118:119], -v[116:117]
	v_accvgpr_read_b32 v122, a140
	v_accvgpr_read_b32 v124, a142
	v_accvgpr_read_b32 v125, a143
	v_accvgpr_read_b32 v123, a141
	v_mul_f64 v[118:119], v[124:125], v[114:115]
	v_fmac_f64_e32 v[118:119], v[122:123], v[112:113]
	v_mul_f64 v[112:113], v[124:125], v[112:113]
	v_fma_f64 v[112:113], v[122:123], v[114:115], -v[112:113]
	v_accvgpr_read_b32 v122, a144
	v_accvgpr_read_b32 v124, a146
	v_accvgpr_read_b32 v125, a147
	v_accvgpr_read_b32 v123, a145
	;; [unrolled: 8-line block ×8, first 2 shown]
	s_waitcnt lgkmcnt(12)
	v_mul_f64 v[144:145], v[90:91], v[86:87]
	v_fmac_f64_e32 v[144:145], v[88:89], v[84:85]
	v_mul_f64 v[84:85], v[90:91], v[84:85]
	v_fma_f64 v[146:147], v[88:89], v[86:87], -v[84:85]
	v_accvgpr_read_b32 v87, a23
	v_accvgpr_read_b32 v86, a22
	v_accvgpr_read_b32 v85, a21
	v_accvgpr_read_b32 v84, a20
	s_waitcnt lgkmcnt(10)
	v_mul_f64 v[148:149], v[86:87], v[82:83]
	v_fmac_f64_e32 v[148:149], v[84:85], v[80:81]
	v_mul_f64 v[80:81], v[86:87], v[80:81]
	v_fma_f64 v[170:171], v[84:85], v[82:83], -v[80:81]
	v_accvgpr_read_b32 v83, a19
	v_accvgpr_read_b32 v82, a18
	v_accvgpr_read_b32 v81, a17
	v_accvgpr_read_b32 v80, a16
	;; [unrolled: 9-line block ×6, first 2 shown]
	s_waitcnt lgkmcnt(0)
	v_mul_f64 v[66:67], v[70:71], v[62:63]
	v_fmac_f64_e32 v[66:67], v[68:69], v[60:61]
	v_mul_f64 v[60:61], v[70:71], v[60:61]
	v_fma_f64 v[80:81], v[68:69], v[62:63], -v[60:61]
	v_add_f64 v[62:63], v[34:35], -v[138:139]
	v_add_f64 v[98:99], v[50:51], -v[122:123]
	v_add_f64 v[78:79], v[42:43], -v[130:131]
	v_add_f64 v[70:71], v[38:39], -v[134:135]
	v_fma_f64 v[122:123], v[34:35], 2.0, -v[62:63]
	v_add_f64 v[34:35], v[18:19], -v[234:235]
	v_add_f64 v[88:89], v[56:57], -v[120:121]
	v_add_f64 v[90:91], v[58:59], -v[116:117]
	v_add_f64 v[100:101], v[44:45], -v[124:125]
	v_add_f64 v[102:103], v[46:47], -v[126:127]
	v_fma_f64 v[86:87], v[42:43], 2.0, -v[78:79]
	v_fma_f64 v[130:131], v[38:39], 2.0, -v[70:71]
	v_add_f64 v[42:43], v[22:23], -v[170:171]
	v_fma_f64 v[38:39], v[18:19], 2.0, -v[34:35]
	v_add_f64 v[18:19], v[10:11], -v[72:73]
	v_fma_f64 v[104:105], v[56:57], 2.0, -v[88:89]
	v_fma_f64 v[106:107], v[58:59], 2.0, -v[90:91]
	v_add_f64 v[92:93], v[52:53], -v[118:119]
	v_add_f64 v[94:95], v[54:55], -v[112:113]
	v_add_f64 v[96:97], v[48:49], -v[114:115]
	v_fma_f64 v[116:117], v[44:45], 2.0, -v[100:101]
	v_fma_f64 v[118:119], v[46:47], 2.0, -v[102:103]
	v_add_f64 v[76:77], v[40:41], -v[128:129]
	v_add_f64 v[68:69], v[36:37], -v[132:133]
	;; [unrolled: 1-line block ×5, first 2 shown]
	v_fma_f64 v[46:47], v[22:23], 2.0, -v[42:43]
	v_fma_f64 v[22:23], v[10:11], 2.0, -v[18:19]
	v_add_f64 v[10:11], v[6:7], -v[64:65]
	v_accvgpr_read_b32 v64, a65
	v_fma_f64 v[108:109], v[52:53], 2.0, -v[92:93]
	v_fma_f64 v[110:111], v[54:55], 2.0, -v[94:95]
	;; [unrolled: 1-line block ×9, first 2 shown]
	v_add_f64 v[48:49], v[24:25], -v[144:145]
	v_add_f64 v[50:51], v[26:27], -v[146:147]
	s_barrier
	ds_write_b128 v240, v[104:107]
	ds_write_b128 v240, v[88:91] offset:7680
	ds_write_b128 v240, v[108:111] offset:2048
	;; [unrolled: 1-line block ×5, first 2 shown]
	ds_write_b128 v64, v[116:119]
	ds_write_b128 v64, v[100:103] offset:7680
	ds_write_b128 v240, v[84:87] offset:15872
	;; [unrolled: 1-line block ×7, first 2 shown]
	v_accvgpr_read_b32 v60, a35
	v_fma_f64 v[52:53], v[24:25], 2.0, -v[48:49]
	v_fma_f64 v[54:55], v[26:27], 2.0, -v[50:51]
	v_add_f64 v[40:41], v[20:21], -v[148:149]
	ds_write_b128 v60, v[124:127]
	ds_write_b128 v60, v[56:59] offset:7680
	v_accvgpr_read_b32 v56, a34
	v_fma_f64 v[44:45], v[20:21], 2.0, -v[40:41]
	v_add_f64 v[32:33], v[16:17], -v[174:175]
	ds_write_b128 v56, v[52:55] offset:30720
	ds_write_b128 v56, v[48:51] offset:38400
	v_accvgpr_read_b32 v48, a66
	v_fma_f64 v[36:37], v[16:17], 2.0, -v[32:33]
	v_add_f64 v[24:25], v[12:13], -v[236:237]
	v_add_f64 v[26:27], v[14:15], -v[238:239]
	ds_write_b128 v48, v[44:47] offset:30720
	ds_write_b128 v48, v[40:43] offset:38400
	v_accvgpr_read_b32 v40, a68
	v_fma_f64 v[28:29], v[12:13], 2.0, -v[24:25]
	v_fma_f64 v[30:31], v[14:15], 2.0, -v[26:27]
	v_add_f64 v[16:17], v[8:9], -v[254:255]
	ds_write_b128 v40, v[36:39] offset:30720
	ds_write_b128 v40, v[32:35] offset:38400
	v_accvgpr_read_b32 v32, a29
	v_fma_f64 v[20:21], v[8:9], 2.0, -v[16:17]
	v_add_f64 v[8:9], v[4:5], -v[74:75]
	ds_write_b128 v32, v[28:31]
	ds_write_b128 v32, v[24:27] offset:7680
	v_accvgpr_read_b32 v24, a28
	v_fma_f64 v[12:13], v[4:5], 2.0, -v[8:9]
	v_fma_f64 v[14:15], v[6:7], 2.0, -v[10:11]
	v_add_f64 v[4:5], v[0:1], -v[66:67]
	v_add_f64 v[6:7], v[2:3], -v[80:81]
	ds_write_b128 v24, v[20:23] offset:46080
	ds_write_b128 v24, v[16:19] offset:53760
	v_accvgpr_read_b32 v16, a64
	v_accvgpr_read_b32 v125, a55
	v_fma_f64 v[0:1], v[0:1], 2.0, -v[4:5]
	v_fma_f64 v[2:3], v[2:3], 2.0, -v[6:7]
	ds_write_b128 v16, v[12:15] offset:46080
	ds_write_b128 v16, v[8:11] offset:53760
	v_accvgpr_read_b32 v8, a70
	v_accvgpr_read_b32 v124, a54
	ds_write_b128 v8, v[0:3] offset:46080
	ds_write_b128 v8, v[4:7] offset:53760
	s_waitcnt lgkmcnt(0)
	s_barrier
	ds_read_b128 v[56:59], v240
	ds_read_b128 v[116:119], v240 offset:30720
	ds_read_b128 v[52:55], v240 offset:2048
	;; [unrolled: 1-line block ×29, first 2 shown]
	v_accvgpr_read_b32 v123, a53
	v_accvgpr_read_b32 v122, a52
	s_waitcnt lgkmcnt(14)
	v_mul_f64 v[120:121], v[124:125], v[118:119]
	v_fmac_f64_e32 v[120:121], v[122:123], v[116:117]
	v_mul_f64 v[116:117], v[124:125], v[116:117]
	v_fma_f64 v[116:117], v[122:123], v[118:119], -v[116:117]
	v_accvgpr_read_b32 v125, a51
	v_accvgpr_read_b32 v124, a50
	v_accvgpr_read_b32 v123, a49
	v_accvgpr_read_b32 v122, a48
	v_mul_f64 v[118:119], v[124:125], v[114:115]
	v_fmac_f64_e32 v[118:119], v[122:123], v[112:113]
	v_mul_f64 v[112:113], v[124:125], v[112:113]
	v_fma_f64 v[112:113], v[122:123], v[114:115], -v[112:113]
	v_accvgpr_read_b32 v125, a47
	v_accvgpr_read_b32 v124, a46
	v_accvgpr_read_b32 v123, a45
	v_accvgpr_read_b32 v122, a44
	;; [unrolled: 8-line block ×6, first 2 shown]
	v_mul_f64 v[98:99], v[124:125], v[94:95]
	v_fmac_f64_e32 v[98:99], v[122:123], v[92:93]
	v_mul_f64 v[92:93], v[124:125], v[92:93]
	v_fma_f64 v[92:93], v[122:123], v[94:95], -v[92:93]
	v_accvgpr_read_b32 v125, a27
	v_accvgpr_read_b32 v124, a26
	s_waitcnt lgkmcnt(10)
	v_mul_f64 v[128:129], v[248:249], v[82:83]
	v_accvgpr_read_b32 v123, a25
	v_accvgpr_read_b32 v122, a24
	v_mul_f64 v[94:95], v[124:125], v[90:91]
	v_fmac_f64_e32 v[128:129], v[246:247], v[80:81]
	v_mul_f64 v[80:81], v[248:249], v[80:81]
	s_waitcnt lgkmcnt(6)
	v_mul_f64 v[136:137], v[230:231], v[74:75]
	s_waitcnt lgkmcnt(4)
	v_mul_f64 v[140:141], v[226:227], v[70:71]
	v_fmac_f64_e32 v[94:95], v[122:123], v[88:89]
	v_mul_f64 v[88:89], v[124:125], v[88:89]
	v_mul_f64 v[124:125], v[252:253], v[86:87]
	v_fma_f64 v[130:131], v[246:247], v[82:83], -v[80:81]
	v_fmac_f64_e32 v[136:137], v[228:229], v[72:73]
	v_mul_f64 v[72:73], v[230:231], v[72:73]
	v_fmac_f64_e32 v[140:141], v[224:225], v[68:69]
	v_mul_f64 v[68:69], v[226:227], v[68:69]
	s_waitcnt lgkmcnt(2)
	v_mul_f64 v[144:145], v[222:223], v[66:67]
	v_fmac_f64_e32 v[124:125], v[250:251], v[84:85]
	v_mul_f64 v[84:85], v[252:253], v[84:85]
	v_mul_f64 v[132:133], v[244:245], v[78:79]
	v_fma_f64 v[138:139], v[228:229], v[74:75], -v[72:73]
	v_fma_f64 v[142:143], v[224:225], v[70:71], -v[68:69]
	v_fmac_f64_e32 v[144:145], v[220:221], v[64:65]
	v_mul_f64 v[64:65], v[222:223], v[64:65]
	v_add_f64 v[70:71], v[50:51], -v[108:109]
	v_add_f64 v[72:73], v[44:45], -v[110:111]
	;; [unrolled: 1-line block ×4, first 2 shown]
	v_fma_f64 v[122:123], v[122:123], v[90:91], -v[88:89]
	v_fma_f64 v[126:127], v[250:251], v[86:87], -v[84:85]
	v_fmac_f64_e32 v[132:133], v[242:243], v[76:77]
	v_mul_f64 v[76:77], v[244:245], v[76:77]
	v_fma_f64 v[146:147], v[220:221], v[66:67], -v[64:65]
	s_waitcnt lgkmcnt(0)
	v_mul_f64 v[148:149], v[218:219], v[62:63]
	v_add_f64 v[66:67], v[54:55], -v[112:113]
	v_add_f64 v[68:69], v[48:49], -v[114:115]
	;; [unrolled: 1-line block ×4, first 2 shown]
	v_fma_f64 v[112:113], v[20:21], 2.0, -v[108:109]
	v_fma_f64 v[114:115], v[22:23], 2.0, -v[110:111]
	v_add_f64 v[20:21], v[12:13], -v[136:137]
	v_add_f64 v[22:23], v[14:15], -v[138:139]
	v_fma_f64 v[134:135], v[242:243], v[78:79], -v[76:77]
	v_fmac_f64_e32 v[148:149], v[216:217], v[60:61]
	v_mul_f64 v[60:61], v[218:219], v[60:61]
	v_add_f64 v[78:79], v[42:43], -v[100:101]
	v_add_f64 v[80:81], v[36:37], -v[102:103]
	v_fma_f64 v[88:89], v[32:33], 2.0, -v[84:85]
	v_fma_f64 v[90:91], v[34:35], 2.0, -v[86:87]
	v_add_f64 v[92:93], v[28:29], -v[94:95]
	v_add_f64 v[94:95], v[30:31], -v[122:123]
	;; [unrolled: 1-line block ×4, first 2 shown]
	v_fma_f64 v[32:33], v[12:13], 2.0, -v[20:21]
	v_fma_f64 v[34:35], v[14:15], 2.0, -v[22:23]
	v_add_f64 v[12:13], v[8:9], -v[140:141]
	v_add_f64 v[14:15], v[10:11], -v[142:143]
	v_fma_f64 v[170:171], v[216:217], v[62:63], -v[60:61]
	v_add_f64 v[74:75], v[46:47], -v[104:105]
	v_add_f64 v[76:77], v[40:41], -v[106:107]
	v_add_f64 v[82:83], v[38:39], -v[96:97]
	v_fma_f64 v[96:97], v[28:29], 2.0, -v[92:93]
	v_fma_f64 v[98:99], v[30:31], 2.0, -v[94:95]
	v_fma_f64 v[104:105], v[24:25], 2.0, -v[100:101]
	v_fma_f64 v[106:107], v[26:27], 2.0, -v[102:103]
	v_add_f64 v[28:29], v[16:17], -v[132:133]
	v_add_f64 v[30:31], v[18:19], -v[134:135]
	v_fma_f64 v[24:25], v[8:9], 2.0, -v[12:13]
	v_fma_f64 v[26:27], v[10:11], 2.0, -v[14:15]
	v_add_f64 v[8:9], v[4:5], -v[144:145]
	v_add_f64 v[10:11], v[6:7], -v[146:147]
	;; [unrolled: 1-line block ×5, first 2 shown]
	v_fma_f64 v[116:117], v[16:17], 2.0, -v[28:29]
	v_fma_f64 v[118:119], v[18:19], 2.0, -v[30:31]
	;; [unrolled: 1-line block ×4, first 2 shown]
	v_add_f64 v[4:5], v[0:1], -v[148:149]
	v_add_f64 v[6:7], v[2:3], -v[170:171]
	v_fma_f64 v[56:57], v[56:57], 2.0, -v[60:61]
	v_fma_f64 v[58:59], v[58:59], 2.0, -v[62:63]
	;; [unrolled: 1-line block ×14, first 2 shown]
	s_barrier
	ds_write_b128 v240, v[56:59]
	ds_write_b128 v240, v[60:63] offset:15360
	ds_write_b128 v240, v[52:55] offset:2048
	;; [unrolled: 1-line block ×13, first 2 shown]
	ds_write_b128 v233, v[96:99]
	ds_write_b128 v233, v[92:95] offset:15360
	ds_write_b128 v240, v[104:107] offset:31744
	;; [unrolled: 1-line block ×15, first 2 shown]
	s_waitcnt lgkmcnt(0)
	s_barrier
	ds_read_b128 v[20:23], v240
	ds_read_b128 v[60:63], v240 offset:30720
	ds_read_b128 v[32:35], v240 offset:2048
	;; [unrolled: 1-line block ×29, first 2 shown]
	s_waitcnt lgkmcnt(14)
	v_mul_f64 v[120:121], v[214:215], v[62:63]
	v_fmac_f64_e32 v[120:121], v[212:213], v[60:61]
	v_mul_f64 v[60:61], v[214:215], v[60:61]
	v_fma_f64 v[62:63], v[212:213], v[62:63], -v[60:61]
	v_mul_f64 v[60:61], v[210:211], v[64:65]
	v_mul_f64 v[122:123], v[210:211], v[66:67]
	v_fma_f64 v[66:67], v[208:209], v[66:67], -v[60:61]
	v_mul_f64 v[124:125], v[206:207], v[78:79]
	v_mul_f64 v[60:61], v[206:207], v[76:77]
	v_fmac_f64_e32 v[124:125], v[204:205], v[76:77]
	v_fma_f64 v[76:77], v[204:205], v[78:79], -v[60:61]
	v_mul_f64 v[78:79], v[202:203], v[94:95]
	v_mul_f64 v[60:61], v[202:203], v[92:93]
	v_fmac_f64_e32 v[78:79], v[200:201], v[92:93]
	;; [unrolled: 4-line block ×6, first 2 shown]
	v_fma_f64 v[116:117], v[184:185], v[118:119], -v[60:61]
	s_waitcnt lgkmcnt(12)
	v_mul_f64 v[118:119], v[182:183], v[102:103]
	v_mul_f64 v[60:61], v[182:183], v[100:101]
	v_fmac_f64_e32 v[118:119], v[180:181], v[100:101]
	v_fma_f64 v[100:101], v[180:181], v[102:103], -v[60:61]
	s_waitcnt lgkmcnt(10)
	v_mul_f64 v[60:61], v[178:179], v[96:97]
	v_mul_f64 v[102:103], v[178:179], v[98:99]
	v_fma_f64 v[98:99], v[176:177], v[98:99], -v[60:61]
	s_waitcnt lgkmcnt(8)
	v_mul_f64 v[60:61], v[168:169], v[88:89]
	v_fma_f64 v[128:129], v[166:167], v[90:91], -v[60:61]
	s_waitcnt lgkmcnt(6)
	;; [unrolled: 3-line block ×3, first 2 shown]
	v_mul_f64 v[60:61], v[160:161], v[80:81]
	v_mul_f64 v[134:135], v[160:161], v[82:83]
	v_fma_f64 v[136:137], v[158:159], v[82:83], -v[60:61]
	s_waitcnt lgkmcnt(2)
	v_mul_f64 v[60:61], v[156:157], v[72:73]
	v_mul_f64 v[126:127], v[168:169], v[90:91]
	;; [unrolled: 1-line block ×3, first 2 shown]
	v_fmac_f64_e32 v[134:135], v[158:159], v[80:81]
	v_mul_f64 v[138:139], v[156:157], v[74:75]
	v_fma_f64 v[140:141], v[154:155], v[74:75], -v[60:61]
	s_waitcnt lgkmcnt(0)
	v_mul_f64 v[142:143], v[152:153], v[70:71]
	v_mul_f64 v[60:61], v[152:153], v[68:69]
	v_fmac_f64_e32 v[122:123], v[208:209], v[64:65]
	v_fmac_f64_e32 v[102:103], v[176:177], v[96:97]
	;; [unrolled: 1-line block ×6, first 2 shown]
	v_fma_f64 v[144:145], v[150:151], v[70:71], -v[60:61]
	v_add_f64 v[60:61], v[20:21], -v[120:121]
	v_add_f64 v[62:63], v[22:23], -v[62:63]
	;; [unrolled: 1-line block ×6, first 2 shown]
	v_fma_f64 v[20:21], v[20:21], 2.0, -v[60:61]
	v_fma_f64 v[22:23], v[22:23], 2.0, -v[62:63]
	v_add_f64 v[64:65], v[32:33], -v[122:123]
	v_add_f64 v[66:67], v[34:35], -v[66:67]
	;; [unrolled: 1-line block ×21, first 2 shown]
	v_fma_f64 v[8:9], v[8:9], 2.0, -v[108:109]
	v_add_f64 v[112:113], v[4:5], -v[138:139]
	v_fma_f64 v[6:7], v[6:7], 2.0, -v[114:115]
	v_add_f64 v[116:117], v[0:1], -v[142:143]
	v_add_f64 v[118:119], v[2:3], -v[144:145]
	v_fma_f64 v[32:33], v[32:33], 2.0, -v[64:65]
	v_fma_f64 v[34:35], v[34:35], 2.0, -v[66:67]
	;; [unrolled: 1-line block ×26, first 2 shown]
	ds_write_b128 v240, v[20:23]
	ds_write_b128 v240, v[60:63] offset:30720
	ds_write_b128 v240, v[32:35] offset:2048
	;; [unrolled: 1-line block ×29, first 2 shown]
	s_waitcnt lgkmcnt(0)
	s_barrier
	scratch_load_dwordx4 v[6:9], off, off offset:60 ; 16-byte Folded Reload
	scratch_load_dwordx4 v[10:13], off, off offset:100 ; 16-byte Folded Reload
	ds_read_b128 v[0:3], v240
	scratch_load_dwordx4 v[14:17], off, off offset:168 ; 16-byte Folded Reload
	s_waitcnt vmcnt(2) lgkmcnt(0)
	v_mul_f64 v[4:5], v[8:9], v[2:3]
	v_fmac_f64_e32 v[4:5], v[6:7], v[0:1]
	v_mul_f64 v[0:1], v[8:9], v[0:1]
	v_accvgpr_read_b32 v9, a71              ;  Reload Reuse
	scratch_load_dword v8, off, off offset:92 ; 4-byte Folded Reload
	v_fma_f64 v[0:1], v[6:7], v[2:3], -v[0:1]
	v_mul_f64 v[6:7], v[0:1], s[2:3]
	v_mad_u64_u32 v[0:1], s[4:5], s0, v232, 0
	v_mov_b32_e32 v2, v1
	v_mad_u64_u32 v[2:3], s[4:5], s1, v232, v[2:3]
	v_mov_b32_e32 v1, v2
	v_accvgpr_read_b32 v3, a67              ;  Reload Reuse
	v_accvgpr_read_b32 v2, a69              ;  Reload Reuse
	v_mul_f64 v[4:5], v[4:5], s[2:3]
	s_waitcnt vmcnt(0)
	v_lshl_add_u64 v[2:3], v[8:9], 4, v[2:3]
	v_lshl_add_u64 v[8:9], v[0:1], 4, v[2:3]
	ds_read_b128 v[0:3], v240 offset:6144
	global_store_dwordx4 v[8:9], v[4:7], off
	v_mad_u64_u32 v[8:9], s[4:5], s0, v172, v[8:9]
	s_mul_i32 s4, s1, 0x1800
	s_waitcnt lgkmcnt(0)
	v_mul_f64 v[4:5], v[12:13], v[2:3]
	v_fmac_f64_e32 v[4:5], v[10:11], v[0:1]
	v_mul_f64 v[0:1], v[12:13], v[0:1]
	v_fma_f64 v[0:1], v[10:11], v[2:3], -v[0:1]
	scratch_load_dwordx4 v[10:13], off, off offset:152 ; 16-byte Folded Reload
	v_mul_f64 v[6:7], v[0:1], s[2:3]
	ds_read_b128 v[0:3], v240 offset:12288
	v_mul_f64 v[4:5], v[4:5], s[2:3]
	v_add_u32_e32 v9, s4, v9
	global_store_dwordx4 v[8:9], v[4:7], off
	v_mad_u64_u32 v[8:9], s[6:7], s0, v172, v[8:9]
	v_add_u32_e32 v9, s4, v9
	s_mul_i32 s1, s1, 0xffff3000
	s_sub_i32 s1, s1, s0
	s_waitcnt vmcnt(1) lgkmcnt(0)
	v_mul_f64 v[4:5], v[12:13], v[2:3]
	v_fmac_f64_e32 v[4:5], v[10:11], v[0:1]
	v_mul_f64 v[0:1], v[12:13], v[0:1]
	v_fma_f64 v[0:1], v[10:11], v[2:3], -v[0:1]
	scratch_load_dwordx4 v[10:13], off, off offset:212 ; 16-byte Folded Reload
	v_mul_f64 v[6:7], v[0:1], s[2:3]
	ds_read_b128 v[0:3], v240 offset:18432
	v_mul_f64 v[4:5], v[4:5], s[2:3]
	global_store_dwordx4 v[8:9], v[4:7], off
	v_mad_u64_u32 v[8:9], s[6:7], s0, v172, v[8:9]
	v_add_u32_e32 v9, s4, v9
	s_waitcnt vmcnt(1) lgkmcnt(0)
	v_mul_f64 v[4:5], v[12:13], v[2:3]
	v_fmac_f64_e32 v[4:5], v[10:11], v[0:1]
	v_mul_f64 v[0:1], v[12:13], v[0:1]
	v_fma_f64 v[0:1], v[10:11], v[2:3], -v[0:1]
	scratch_load_dwordx4 v[10:13], off, off offset:260 ; 16-byte Folded Reload
	v_mul_f64 v[6:7], v[0:1], s[2:3]
	ds_read_b128 v[0:3], v240 offset:24576
	v_mul_f64 v[4:5], v[4:5], s[2:3]
	global_store_dwordx4 v[8:9], v[4:7], off
	v_mad_u64_u32 v[8:9], s[6:7], s0, v172, v[8:9]
	v_add_u32_e32 v9, s4, v9
	s_waitcnt vmcnt(1) lgkmcnt(0)
	v_mul_f64 v[4:5], v[12:13], v[2:3]
	v_fmac_f64_e32 v[4:5], v[10:11], v[0:1]
	v_mul_f64 v[0:1], v[12:13], v[0:1]
	v_fma_f64 v[0:1], v[10:11], v[2:3], -v[0:1]
	scratch_load_dwordx4 v[10:13], off, off offset:316 ; 16-byte Folded Reload
	v_mul_f64 v[6:7], v[0:1], s[2:3]
	ds_read_b128 v[0:3], v240 offset:30720
	v_mul_f64 v[4:5], v[4:5], s[2:3]
	global_store_dwordx4 v[8:9], v[4:7], off
	v_mad_u64_u32 v[8:9], s[6:7], s0, v172, v[8:9]
	v_add_u32_e32 v9, s4, v9
	s_waitcnt vmcnt(1) lgkmcnt(0)
	v_mul_f64 v[4:5], v[12:13], v[2:3]
	v_fmac_f64_e32 v[4:5], v[10:11], v[0:1]
	v_mul_f64 v[0:1], v[12:13], v[0:1]
	v_fma_f64 v[0:1], v[10:11], v[2:3], -v[0:1]
	scratch_load_dwordx4 v[10:13], off, off offset:388 ; 16-byte Folded Reload
	v_mul_f64 v[6:7], v[0:1], s[2:3]
	ds_read_b128 v[0:3], v240 offset:36864
	v_mul_f64 v[4:5], v[4:5], s[2:3]
	global_store_dwordx4 v[8:9], v[4:7], off
	v_mad_u64_u32 v[8:9], s[6:7], s0, v172, v[8:9]
	v_add_u32_e32 v9, s4, v9
	s_waitcnt vmcnt(1) lgkmcnt(0)
	v_mul_f64 v[4:5], v[12:13], v[2:3]
	v_fmac_f64_e32 v[4:5], v[10:11], v[0:1]
	v_mul_f64 v[0:1], v[12:13], v[0:1]
	v_fma_f64 v[0:1], v[10:11], v[2:3], -v[0:1]
	scratch_load_dwordx4 v[10:13], off, off offset:420 ; 16-byte Folded Reload
	v_mul_f64 v[6:7], v[0:1], s[2:3]
	ds_read_b128 v[0:3], v240 offset:43008
	v_mul_f64 v[4:5], v[4:5], s[2:3]
	global_store_dwordx4 v[8:9], v[4:7], off
	v_mad_u64_u32 v[8:9], s[6:7], s0, v172, v[8:9]
	v_add_u32_e32 v9, s4, v9
	s_waitcnt vmcnt(1) lgkmcnt(0)
	v_mul_f64 v[4:5], v[12:13], v[2:3]
	v_fmac_f64_e32 v[4:5], v[10:11], v[0:1]
	v_mul_f64 v[0:1], v[12:13], v[0:1]
	v_fma_f64 v[0:1], v[10:11], v[2:3], -v[0:1]
	scratch_load_dwordx4 v[10:13], off, off offset:436 ; 16-byte Folded Reload
	v_mul_f64 v[6:7], v[0:1], s[2:3]
	ds_read_b128 v[0:3], v240 offset:49152
	v_mul_f64 v[4:5], v[4:5], s[2:3]
	global_store_dwordx4 v[8:9], v[4:7], off
	v_mad_u64_u32 v[8:9], s[6:7], s0, v172, v[8:9]
	v_add_u32_e32 v9, s4, v9
	s_waitcnt vmcnt(1) lgkmcnt(0)
	v_mul_f64 v[4:5], v[12:13], v[2:3]
	v_fmac_f64_e32 v[4:5], v[10:11], v[0:1]
	v_mul_f64 v[0:1], v[12:13], v[0:1]
	v_fma_f64 v[0:1], v[10:11], v[2:3], -v[0:1]
	scratch_load_dwordx4 v[10:13], off, off offset:496 ; 16-byte Folded Reload
	v_mul_f64 v[6:7], v[0:1], s[2:3]
	ds_read_b128 v[0:3], v240 offset:55296
	v_mul_f64 v[4:5], v[4:5], s[2:3]
	global_store_dwordx4 v[8:9], v[4:7], off
	s_waitcnt vmcnt(1) lgkmcnt(0)
	s_nop 0
	v_mul_f64 v[4:5], v[12:13], v[2:3]
	v_fmac_f64_e32 v[4:5], v[10:11], v[0:1]
	v_mul_f64 v[0:1], v[12:13], v[0:1]
	v_fma_f64 v[0:1], v[10:11], v[2:3], -v[0:1]
	v_mul_f64 v[6:7], v[0:1], s[2:3]
	v_mad_u64_u32 v[0:1], s[6:7], s0, v172, v[8:9]
	scratch_load_dwordx4 v[8:11], off, off offset:76 ; 16-byte Folded Reload
	v_mul_f64 v[4:5], v[4:5], s[2:3]
	v_add_u32_e32 v1, s4, v1
	global_store_dwordx4 v[0:1], v[4:7], off
	ds_read_b128 v[2:5], v240 offset:2048
	v_mov_b32_e32 v12, 0xffff3000
	s_waitcnt vmcnt(1) lgkmcnt(0)
	v_mul_f64 v[6:7], v[10:11], v[4:5]
	v_fmac_f64_e32 v[6:7], v[8:9], v[2:3]
	v_mul_f64 v[2:3], v[10:11], v[2:3]
	v_fma_f64 v[2:3], v[8:9], v[4:5], -v[2:3]
	v_mad_u64_u32 v[10:11], s[6:7], s0, v12, v[0:1]
	v_mul_f64 v[6:7], v[6:7], s[2:3]
	v_mul_f64 v[8:9], v[2:3], s[2:3]
	v_add_u32_e32 v11, s1, v11
	global_store_dwordx4 v[10:11], v[6:9], off
	scratch_load_dwordx4 v[6:9], off, off offset:116 ; 16-byte Folded Reload
	ds_read_b128 v[0:3], v240 offset:8192
	s_waitcnt vmcnt(0) lgkmcnt(0)
	v_mul_f64 v[4:5], v[8:9], v[2:3]
	v_fmac_f64_e32 v[4:5], v[6:7], v[0:1]
	v_mul_f64 v[0:1], v[8:9], v[0:1]
	v_fma_f64 v[0:1], v[6:7], v[2:3], -v[0:1]
	v_mul_f64 v[6:7], v[0:1], s[2:3]
	ds_read_b128 v[0:3], v240 offset:14336
	v_mad_u64_u32 v[8:9], s[6:7], s0, v172, v[10:11]
	v_mul_f64 v[4:5], v[4:5], s[2:3]
	v_add_u32_e32 v9, s4, v9
	global_store_dwordx4 v[8:9], v[4:7], off
	v_mad_u64_u32 v[8:9], s[6:7], s0, v172, v[8:9]
	s_waitcnt lgkmcnt(0)
	v_mul_f64 v[4:5], v[16:17], v[2:3]
	v_fmac_f64_e32 v[4:5], v[14:15], v[0:1]
	v_mul_f64 v[0:1], v[16:17], v[0:1]
	v_fma_f64 v[0:1], v[14:15], v[2:3], -v[0:1]
	scratch_load_dwordx4 v[14:17], off, off offset:452 ; 16-byte Folded Reload
	v_mul_f64 v[6:7], v[0:1], s[2:3]
	ds_read_b128 v[0:3], v240 offset:20480
	v_mul_f64 v[4:5], v[4:5], s[2:3]
	v_add_u32_e32 v9, s4, v9
	global_store_dwordx4 v[8:9], v[4:7], off
	v_mad_u64_u32 v[8:9], s[6:7], s0, v172, v[8:9]
	v_add_u32_e32 v9, s4, v9
	s_waitcnt vmcnt(1) lgkmcnt(0)
	v_mul_f64 v[4:5], v[16:17], v[2:3]
	v_fmac_f64_e32 v[4:5], v[14:15], v[0:1]
	v_mul_f64 v[0:1], v[16:17], v[0:1]
	v_fma_f64 v[0:1], v[14:15], v[2:3], -v[0:1]
	scratch_load_dwordx4 v[14:17], off, off offset:468 ; 16-byte Folded Reload
	v_mul_f64 v[6:7], v[0:1], s[2:3]
	ds_read_b128 v[0:3], v240 offset:26624
	v_mul_f64 v[4:5], v[4:5], s[2:3]
	global_store_dwordx4 v[8:9], v[4:7], off
	v_mad_u64_u32 v[8:9], s[6:7], s0, v172, v[8:9]
	v_add_u32_e32 v9, s4, v9
	s_waitcnt vmcnt(1) lgkmcnt(0)
	v_mul_f64 v[4:5], v[16:17], v[2:3]
	v_fmac_f64_e32 v[4:5], v[14:15], v[0:1]
	v_mul_f64 v[0:1], v[16:17], v[0:1]
	v_fma_f64 v[0:1], v[14:15], v[2:3], -v[0:1]
	scratch_load_dwordx4 v[14:17], off, off offset:512 ; 16-byte Folded Reload
	v_mul_f64 v[6:7], v[0:1], s[2:3]
	ds_read_b128 v[0:3], v240 offset:32768
	v_mul_f64 v[4:5], v[4:5], s[2:3]
	;; [unrolled: 12-line block ×6, first 2 shown]
	global_store_dwordx4 v[8:9], v[4:7], off
	s_waitcnt vmcnt(1) lgkmcnt(0)
	s_nop 0
	v_mul_f64 v[4:5], v[16:17], v[2:3]
	v_fmac_f64_e32 v[4:5], v[14:15], v[0:1]
	v_mul_f64 v[0:1], v[16:17], v[0:1]
	v_fma_f64 v[0:1], v[14:15], v[2:3], -v[0:1]
	v_mul_f64 v[6:7], v[0:1], s[2:3]
	v_mad_u64_u32 v[0:1], s[6:7], s0, v172, v[8:9]
	scratch_load_dwordx4 v[8:11], off, off offset:352 ; 16-byte Folded Reload
	v_mul_f64 v[4:5], v[4:5], s[2:3]
	v_add_u32_e32 v1, s4, v1
	global_store_dwordx4 v[0:1], v[4:7], off
	ds_read_b128 v[2:5], v240 offset:4096
	s_waitcnt vmcnt(1) lgkmcnt(0)
	v_mul_f64 v[6:7], v[10:11], v[4:5]
	v_fmac_f64_e32 v[6:7], v[8:9], v[2:3]
	v_mul_f64 v[2:3], v[10:11], v[2:3]
	v_fma_f64 v[2:3], v[8:9], v[4:5], -v[2:3]
	v_mad_u64_u32 v[10:11], s[6:7], s0, v12, v[0:1]
	v_mul_f64 v[6:7], v[6:7], s[2:3]
	v_mul_f64 v[8:9], v[2:3], s[2:3]
	v_add_u32_e32 v11, s1, v11
	global_store_dwordx4 v[10:11], v[6:9], off
	scratch_load_dwordx4 v[6:9], off, off offset:404 ; 16-byte Folded Reload
	ds_read_b128 v[0:3], v240 offset:10240
	s_waitcnt vmcnt(0) lgkmcnt(0)
	v_mul_f64 v[4:5], v[8:9], v[2:3]
	v_fmac_f64_e32 v[4:5], v[6:7], v[0:1]
	v_mul_f64 v[0:1], v[8:9], v[0:1]
	v_mad_u64_u32 v[8:9], s[6:7], s0, v172, v[10:11]
	scratch_load_dwordx4 v[10:13], off, off offset:300 ; 16-byte Folded Reload
	v_fma_f64 v[0:1], v[6:7], v[2:3], -v[0:1]
	v_mul_f64 v[6:7], v[0:1], s[2:3]
	ds_read_b128 v[0:3], v240 offset:16384
	v_mul_f64 v[4:5], v[4:5], s[2:3]
	v_add_u32_e32 v9, s4, v9
	global_store_dwordx4 v[8:9], v[4:7], off
	v_mad_u64_u32 v[8:9], s[6:7], s0, v172, v[8:9]
	v_add_u32_e32 v9, s4, v9
	s_waitcnt vmcnt(1) lgkmcnt(0)
	v_mul_f64 v[4:5], v[12:13], v[2:3]
	v_fmac_f64_e32 v[4:5], v[10:11], v[0:1]
	v_mul_f64 v[0:1], v[12:13], v[0:1]
	v_fma_f64 v[0:1], v[10:11], v[2:3], -v[0:1]
	scratch_load_dwordx4 v[10:13], off, off offset:372 ; 16-byte Folded Reload
	v_mul_f64 v[6:7], v[0:1], s[2:3]
	ds_read_b128 v[0:3], v240 offset:22528
	v_mul_f64 v[4:5], v[4:5], s[2:3]
	global_store_dwordx4 v[8:9], v[4:7], off
	v_mad_u64_u32 v[8:9], s[6:7], s0, v172, v[8:9]
	v_add_u32_e32 v9, s4, v9
	s_waitcnt vmcnt(1) lgkmcnt(0)
	v_mul_f64 v[4:5], v[12:13], v[2:3]
	v_fmac_f64_e32 v[4:5], v[10:11], v[0:1]
	v_mul_f64 v[0:1], v[12:13], v[0:1]
	v_fma_f64 v[0:1], v[10:11], v[2:3], -v[0:1]
	scratch_load_dwordx4 v[10:13], off, off offset:244 ; 16-byte Folded Reload
	v_mul_f64 v[6:7], v[0:1], s[2:3]
	ds_read_b128 v[0:3], v240 offset:28672
	v_mul_f64 v[4:5], v[4:5], s[2:3]
	global_store_dwordx4 v[8:9], v[4:7], off
	v_mad_u64_u32 v[8:9], s[6:7], s0, v172, v[8:9]
	v_add_u32_e32 v9, s4, v9
	s_waitcnt vmcnt(1) lgkmcnt(0)
	v_mul_f64 v[4:5], v[12:13], v[2:3]
	v_fmac_f64_e32 v[4:5], v[10:11], v[0:1]
	v_mul_f64 v[0:1], v[12:13], v[0:1]
	v_fma_f64 v[0:1], v[10:11], v[2:3], -v[0:1]
	scratch_load_dwordx4 v[10:13], off, off offset:336 ; 16-byte Folded Reload
	v_mul_f64 v[6:7], v[0:1], s[2:3]
	ds_read_b128 v[0:3], v240 offset:34816
	v_mul_f64 v[4:5], v[4:5], s[2:3]
	global_store_dwordx4 v[8:9], v[4:7], off
	v_mad_u64_u32 v[8:9], s[6:7], s0, v172, v[8:9]
	v_add_u32_e32 v9, s4, v9
	s_waitcnt vmcnt(1) lgkmcnt(0)
	v_mul_f64 v[4:5], v[12:13], v[2:3]
	v_fmac_f64_e32 v[4:5], v[10:11], v[0:1]
	v_mul_f64 v[0:1], v[12:13], v[0:1]
	v_fma_f64 v[0:1], v[10:11], v[2:3], -v[0:1]
	scratch_load_dwordx4 v[10:13], off, off offset:228 ; 16-byte Folded Reload
	v_mul_f64 v[6:7], v[0:1], s[2:3]
	ds_read_b128 v[0:3], v240 offset:40960
	v_mul_f64 v[4:5], v[4:5], s[2:3]
	global_store_dwordx4 v[8:9], v[4:7], off
	v_mad_u64_u32 v[8:9], s[6:7], s0, v172, v[8:9]
	v_add_u32_e32 v9, s4, v9
	s_waitcnt vmcnt(1) lgkmcnt(0)
	v_mul_f64 v[4:5], v[12:13], v[2:3]
	v_fmac_f64_e32 v[4:5], v[10:11], v[0:1]
	v_mul_f64 v[0:1], v[12:13], v[0:1]
	v_fma_f64 v[0:1], v[10:11], v[2:3], -v[0:1]
	scratch_load_dwordx4 v[10:13], off, off offset:276 ; 16-byte Folded Reload
	v_mul_f64 v[6:7], v[0:1], s[2:3]
	ds_read_b128 v[0:3], v240 offset:47104
	v_mul_f64 v[4:5], v[4:5], s[2:3]
	global_store_dwordx4 v[8:9], v[4:7], off
	v_mad_u64_u32 v[8:9], s[6:7], s0, v172, v[8:9]
	v_add_u32_e32 v9, s4, v9
	s_waitcnt vmcnt(1) lgkmcnt(0)
	v_mul_f64 v[4:5], v[12:13], v[2:3]
	v_fmac_f64_e32 v[4:5], v[10:11], v[0:1]
	v_mul_f64 v[0:1], v[12:13], v[0:1]
	v_fma_f64 v[0:1], v[10:11], v[2:3], -v[0:1]
	scratch_load_dwordx4 v[10:13], off, off offset:192 ; 16-byte Folded Reload
	v_mul_f64 v[6:7], v[0:1], s[2:3]
	ds_read_b128 v[0:3], v240 offset:53248
	v_mul_f64 v[4:5], v[4:5], s[2:3]
	global_store_dwordx4 v[8:9], v[4:7], off
	v_mad_u64_u32 v[8:9], s[6:7], s0, v172, v[8:9]
	v_add_u32_e32 v9, s4, v9
	s_waitcnt vmcnt(1) lgkmcnt(0)
	v_mul_f64 v[4:5], v[12:13], v[2:3]
	v_fmac_f64_e32 v[4:5], v[10:11], v[0:1]
	v_mul_f64 v[0:1], v[12:13], v[0:1]
	v_fma_f64 v[0:1], v[10:11], v[2:3], -v[0:1]
	scratch_load_dwordx4 v[10:13], off, off offset:132 ; 16-byte Folded Reload
	v_mul_f64 v[6:7], v[0:1], s[2:3]
	ds_read_b128 v[0:3], v240 offset:59392
	v_mul_f64 v[4:5], v[4:5], s[2:3]
	global_store_dwordx4 v[8:9], v[4:7], off
	s_waitcnt vmcnt(1) lgkmcnt(0)
	s_nop 0
	v_mul_f64 v[4:5], v[12:13], v[2:3]
	v_fmac_f64_e32 v[4:5], v[10:11], v[0:1]
	v_mul_f64 v[0:1], v[12:13], v[0:1]
	v_fma_f64 v[0:1], v[10:11], v[2:3], -v[0:1]
	v_mul_f64 v[6:7], v[0:1], s[2:3]
	v_mad_u64_u32 v[0:1], s[0:1], s0, v172, v[8:9]
	v_mul_f64 v[4:5], v[4:5], s[2:3]
	v_add_u32_e32 v1, s4, v1
	global_store_dwordx4 v[0:1], v[4:7], off
.LBB0_2:
	s_endpgm
	.section	.rodata,"a",@progbits
	.p2align	6, 0x0
	.amdhsa_kernel bluestein_single_back_len3840_dim1_dp_op_CI_CI
		.amdhsa_group_segment_fixed_size 61440
		.amdhsa_private_segment_fixed_size 1236
		.amdhsa_kernarg_size 104
		.amdhsa_user_sgpr_count 2
		.amdhsa_user_sgpr_dispatch_ptr 0
		.amdhsa_user_sgpr_queue_ptr 0
		.amdhsa_user_sgpr_kernarg_segment_ptr 1
		.amdhsa_user_sgpr_dispatch_id 0
		.amdhsa_user_sgpr_kernarg_preload_length 0
		.amdhsa_user_sgpr_kernarg_preload_offset 0
		.amdhsa_user_sgpr_private_segment_size 0
		.amdhsa_uses_dynamic_stack 0
		.amdhsa_enable_private_segment 1
		.amdhsa_system_sgpr_workgroup_id_x 1
		.amdhsa_system_sgpr_workgroup_id_y 0
		.amdhsa_system_sgpr_workgroup_id_z 0
		.amdhsa_system_sgpr_workgroup_info 0
		.amdhsa_system_vgpr_workitem_id 0
		.amdhsa_next_free_vgpr 512
		.amdhsa_next_free_sgpr 38
		.amdhsa_accum_offset 256
		.amdhsa_reserve_vcc 1
		.amdhsa_float_round_mode_32 0
		.amdhsa_float_round_mode_16_64 0
		.amdhsa_float_denorm_mode_32 3
		.amdhsa_float_denorm_mode_16_64 3
		.amdhsa_dx10_clamp 1
		.amdhsa_ieee_mode 1
		.amdhsa_fp16_overflow 0
		.amdhsa_tg_split 0
		.amdhsa_exception_fp_ieee_invalid_op 0
		.amdhsa_exception_fp_denorm_src 0
		.amdhsa_exception_fp_ieee_div_zero 0
		.amdhsa_exception_fp_ieee_overflow 0
		.amdhsa_exception_fp_ieee_underflow 0
		.amdhsa_exception_fp_ieee_inexact 0
		.amdhsa_exception_int_div_zero 0
	.end_amdhsa_kernel
	.text
.Lfunc_end0:
	.size	bluestein_single_back_len3840_dim1_dp_op_CI_CI, .Lfunc_end0-bluestein_single_back_len3840_dim1_dp_op_CI_CI
                                        ; -- End function
	.section	.AMDGPU.csdata,"",@progbits
; Kernel info:
; codeLenInByte = 46808
; NumSgprs: 44
; NumVgprs: 256
; NumAgprs: 256
; TotalNumVgprs: 512
; ScratchSize: 1236
; MemoryBound: 0
; FloatMode: 240
; IeeeMode: 1
; LDSByteSize: 61440 bytes/workgroup (compile time only)
; SGPRBlocks: 5
; VGPRBlocks: 63
; NumSGPRsForWavesPerEU: 44
; NumVGPRsForWavesPerEU: 512
; AccumOffset: 256
; Occupancy: 1
; WaveLimiterHint : 1
; COMPUTE_PGM_RSRC2:SCRATCH_EN: 1
; COMPUTE_PGM_RSRC2:USER_SGPR: 2
; COMPUTE_PGM_RSRC2:TRAP_HANDLER: 0
; COMPUTE_PGM_RSRC2:TGID_X_EN: 1
; COMPUTE_PGM_RSRC2:TGID_Y_EN: 0
; COMPUTE_PGM_RSRC2:TGID_Z_EN: 0
; COMPUTE_PGM_RSRC2:TIDIG_COMP_CNT: 0
; COMPUTE_PGM_RSRC3_GFX90A:ACCUM_OFFSET: 63
; COMPUTE_PGM_RSRC3_GFX90A:TG_SPLIT: 0
	.text
	.p2alignl 6, 3212836864
	.fill 256, 4, 3212836864
	.type	__hip_cuid_1a806b7a2fcad0cf,@object ; @__hip_cuid_1a806b7a2fcad0cf
	.section	.bss,"aw",@nobits
	.globl	__hip_cuid_1a806b7a2fcad0cf
__hip_cuid_1a806b7a2fcad0cf:
	.byte	0                               ; 0x0
	.size	__hip_cuid_1a806b7a2fcad0cf, 1

	.ident	"AMD clang version 19.0.0git (https://github.com/RadeonOpenCompute/llvm-project roc-6.4.0 25133 c7fe45cf4b819c5991fe208aaa96edf142730f1d)"
	.section	".note.GNU-stack","",@progbits
	.addrsig
	.addrsig_sym __hip_cuid_1a806b7a2fcad0cf
	.amdgpu_metadata
---
amdhsa.kernels:
  - .agpr_count:     256
    .args:
      - .actual_access:  read_only
        .address_space:  global
        .offset:         0
        .size:           8
        .value_kind:     global_buffer
      - .actual_access:  read_only
        .address_space:  global
        .offset:         8
        .size:           8
        .value_kind:     global_buffer
      - .actual_access:  read_only
        .address_space:  global
        .offset:         16
        .size:           8
        .value_kind:     global_buffer
      - .actual_access:  read_only
        .address_space:  global
        .offset:         24
        .size:           8
        .value_kind:     global_buffer
      - .actual_access:  read_only
        .address_space:  global
        .offset:         32
        .size:           8
        .value_kind:     global_buffer
      - .offset:         40
        .size:           8
        .value_kind:     by_value
      - .address_space:  global
        .offset:         48
        .size:           8
        .value_kind:     global_buffer
      - .address_space:  global
        .offset:         56
        .size:           8
        .value_kind:     global_buffer
      - .address_space:  global
        .offset:         64
        .size:           8
        .value_kind:     global_buffer
      - .address_space:  global
        .offset:         72
        .size:           8
        .value_kind:     global_buffer
      - .offset:         80
        .size:           4
        .value_kind:     by_value
      - .address_space:  global
        .offset:         88
        .size:           8
        .value_kind:     global_buffer
      - .address_space:  global
        .offset:         96
        .size:           8
        .value_kind:     global_buffer
    .group_segment_fixed_size: 61440
    .kernarg_segment_align: 8
    .kernarg_segment_size: 104
    .language:       OpenCL C
    .language_version:
      - 2
      - 0
    .max_flat_workgroup_size: 128
    .name:           bluestein_single_back_len3840_dim1_dp_op_CI_CI
    .private_segment_fixed_size: 1236
    .sgpr_count:     44
    .sgpr_spill_count: 0
    .symbol:         bluestein_single_back_len3840_dim1_dp_op_CI_CI.kd
    .uniform_work_group_size: 1
    .uses_dynamic_stack: false
    .vgpr_count:     512
    .vgpr_spill_count: 310
    .wavefront_size: 64
amdhsa.target:   amdgcn-amd-amdhsa--gfx950
amdhsa.version:
  - 1
  - 2
...

	.end_amdgpu_metadata
